;; amdgpu-corpus repo=ROCm/rocFFT kind=compiled arch=gfx950 opt=O3
	.text
	.amdgcn_target "amdgcn-amd-amdhsa--gfx950"
	.amdhsa_code_object_version 6
	.protected	fft_rtc_fwd_len1694_factors_11_2_11_7_wgs_154_tpt_154_halfLds_dp_ip_CI_sbrr_dirReg ; -- Begin function fft_rtc_fwd_len1694_factors_11_2_11_7_wgs_154_tpt_154_halfLds_dp_ip_CI_sbrr_dirReg
	.globl	fft_rtc_fwd_len1694_factors_11_2_11_7_wgs_154_tpt_154_halfLds_dp_ip_CI_sbrr_dirReg
	.p2align	8
	.type	fft_rtc_fwd_len1694_factors_11_2_11_7_wgs_154_tpt_154_halfLds_dp_ip_CI_sbrr_dirReg,@function
fft_rtc_fwd_len1694_factors_11_2_11_7_wgs_154_tpt_154_halfLds_dp_ip_CI_sbrr_dirReg: ; @fft_rtc_fwd_len1694_factors_11_2_11_7_wgs_154_tpt_154_halfLds_dp_ip_CI_sbrr_dirReg
; %bb.0:
	s_load_dwordx2 s[12:13], s[0:1], 0x18
	s_load_dwordx4 s[4:7], s[0:1], 0x0
	s_load_dwordx2 s[10:11], s[0:1], 0x50
	v_mul_u32_u24_e32 v1, 0x1aa, v0
	v_add_u32_sdwa v6, s2, v1 dst_sel:DWORD dst_unused:UNUSED_PAD src0_sel:DWORD src1_sel:WORD_1
	s_waitcnt lgkmcnt(0)
	s_load_dwordx2 s[8:9], s[12:13], 0x0
	v_mov_b32_e32 v4, 0
	v_cmp_lt_u64_e64 s[2:3], s[6:7], 2
	v_mov_b32_e32 v7, v4
	s_and_b64 vcc, exec, s[2:3]
	v_mov_b64_e32 v[2:3], 0
	s_cbranch_vccnz .LBB0_8
; %bb.1:
	s_load_dwordx2 s[2:3], s[0:1], 0x10
	s_add_u32 s14, s12, 8
	s_addc_u32 s15, s13, 0
	s_mov_b64 s[16:17], 1
	v_mov_b64_e32 v[2:3], 0
	s_waitcnt lgkmcnt(0)
	s_add_u32 s18, s2, 8
	s_addc_u32 s19, s3, 0
.LBB0_2:                                ; =>This Inner Loop Header: Depth=1
	s_load_dwordx2 s[20:21], s[18:19], 0x0
                                        ; implicit-def: $vgpr8_vgpr9
	s_waitcnt lgkmcnt(0)
	v_or_b32_e32 v5, s21, v7
	v_cmp_ne_u64_e32 vcc, 0, v[4:5]
	s_and_saveexec_b64 s[2:3], vcc
	s_xor_b64 s[22:23], exec, s[2:3]
	s_cbranch_execz .LBB0_4
; %bb.3:                                ;   in Loop: Header=BB0_2 Depth=1
	v_cvt_f32_u32_e32 v1, s20
	v_cvt_f32_u32_e32 v5, s21
	s_sub_u32 s2, 0, s20
	s_subb_u32 s3, 0, s21
	v_fmac_f32_e32 v1, 0x4f800000, v5
	v_rcp_f32_e32 v1, v1
	s_nop 0
	v_mul_f32_e32 v1, 0x5f7ffffc, v1
	v_mul_f32_e32 v5, 0x2f800000, v1
	v_trunc_f32_e32 v5, v5
	v_fmac_f32_e32 v1, 0xcf800000, v5
	v_cvt_u32_f32_e32 v5, v5
	v_cvt_u32_f32_e32 v1, v1
	v_mul_lo_u32 v8, s2, v5
	v_mul_hi_u32 v10, s2, v1
	v_mul_lo_u32 v9, s3, v1
	v_add_u32_e32 v10, v10, v8
	v_mul_lo_u32 v12, s2, v1
	v_add_u32_e32 v13, v10, v9
	v_mul_hi_u32 v8, v1, v12
	v_mul_hi_u32 v11, v1, v13
	v_mul_lo_u32 v10, v1, v13
	v_mov_b32_e32 v9, v4
	v_lshl_add_u64 v[8:9], v[8:9], 0, v[10:11]
	v_mul_hi_u32 v11, v5, v12
	v_mul_lo_u32 v12, v5, v12
	v_add_co_u32_e32 v8, vcc, v8, v12
	v_mul_hi_u32 v10, v5, v13
	s_nop 0
	v_addc_co_u32_e32 v8, vcc, v9, v11, vcc
	v_mov_b32_e32 v9, v4
	s_nop 0
	v_addc_co_u32_e32 v11, vcc, 0, v10, vcc
	v_mul_lo_u32 v10, v5, v13
	v_lshl_add_u64 v[8:9], v[8:9], 0, v[10:11]
	v_add_co_u32_e32 v1, vcc, v1, v8
	v_mul_lo_u32 v10, s2, v1
	s_nop 0
	v_addc_co_u32_e32 v5, vcc, v5, v9, vcc
	v_mul_lo_u32 v8, s2, v5
	v_mul_hi_u32 v9, s2, v1
	v_add_u32_e32 v8, v9, v8
	v_mul_lo_u32 v9, s3, v1
	v_add_u32_e32 v12, v8, v9
	v_mul_hi_u32 v14, v5, v10
	v_mul_lo_u32 v15, v5, v10
	v_mul_hi_u32 v9, v1, v12
	v_mul_lo_u32 v8, v1, v12
	v_mul_hi_u32 v10, v1, v10
	v_mov_b32_e32 v11, v4
	v_lshl_add_u64 v[8:9], v[10:11], 0, v[8:9]
	v_add_co_u32_e32 v8, vcc, v8, v15
	v_mul_hi_u32 v13, v5, v12
	s_nop 0
	v_addc_co_u32_e32 v8, vcc, v9, v14, vcc
	v_mul_lo_u32 v10, v5, v12
	s_nop 0
	v_addc_co_u32_e32 v11, vcc, 0, v13, vcc
	v_mov_b32_e32 v9, v4
	v_lshl_add_u64 v[8:9], v[8:9], 0, v[10:11]
	v_add_co_u32_e32 v1, vcc, v1, v8
	v_mul_hi_u32 v10, v6, v1
	s_nop 0
	v_addc_co_u32_e32 v5, vcc, v5, v9, vcc
	v_mad_u64_u32 v[8:9], s[2:3], v6, v5, 0
	v_mov_b32_e32 v11, v4
	v_lshl_add_u64 v[8:9], v[10:11], 0, v[8:9]
	v_mad_u64_u32 v[12:13], s[2:3], v7, v1, 0
	v_add_co_u32_e32 v1, vcc, v8, v12
	v_mad_u64_u32 v[10:11], s[2:3], v7, v5, 0
	s_nop 0
	v_addc_co_u32_e32 v8, vcc, v9, v13, vcc
	v_mov_b32_e32 v9, v4
	s_nop 0
	v_addc_co_u32_e32 v11, vcc, 0, v11, vcc
	v_lshl_add_u64 v[8:9], v[8:9], 0, v[10:11]
	v_mul_lo_u32 v1, s21, v8
	v_mul_lo_u32 v5, s20, v9
	v_mad_u64_u32 v[10:11], s[2:3], s20, v8, 0
	v_add3_u32 v1, v11, v5, v1
	v_sub_u32_e32 v5, v7, v1
	v_mov_b32_e32 v11, s21
	v_sub_co_u32_e32 v14, vcc, v6, v10
	v_lshl_add_u64 v[12:13], v[8:9], 0, 1
	s_nop 0
	v_subb_co_u32_e64 v5, s[2:3], v5, v11, vcc
	v_subrev_co_u32_e64 v10, s[2:3], s20, v14
	v_subb_co_u32_e32 v1, vcc, v7, v1, vcc
	s_nop 0
	v_subbrev_co_u32_e64 v5, s[2:3], 0, v5, s[2:3]
	v_cmp_le_u32_e64 s[2:3], s21, v5
	v_cmp_le_u32_e32 vcc, s21, v1
	s_nop 0
	v_cndmask_b32_e64 v11, 0, -1, s[2:3]
	v_cmp_le_u32_e64 s[2:3], s20, v10
	s_nop 1
	v_cndmask_b32_e64 v10, 0, -1, s[2:3]
	v_cmp_eq_u32_e64 s[2:3], s21, v5
	s_nop 1
	v_cndmask_b32_e64 v5, v11, v10, s[2:3]
	v_lshl_add_u64 v[10:11], v[8:9], 0, 2
	v_cmp_ne_u32_e64 s[2:3], 0, v5
	s_nop 1
	v_cndmask_b32_e64 v5, v13, v11, s[2:3]
	v_cndmask_b32_e64 v11, 0, -1, vcc
	v_cmp_le_u32_e32 vcc, s20, v14
	s_nop 1
	v_cndmask_b32_e64 v13, 0, -1, vcc
	v_cmp_eq_u32_e32 vcc, s21, v1
	s_nop 1
	v_cndmask_b32_e32 v1, v11, v13, vcc
	v_cmp_ne_u32_e32 vcc, 0, v1
	v_cndmask_b32_e64 v1, v12, v10, s[2:3]
	s_nop 0
	v_cndmask_b32_e32 v9, v9, v5, vcc
	v_cndmask_b32_e32 v8, v8, v1, vcc
.LBB0_4:                                ;   in Loop: Header=BB0_2 Depth=1
	s_andn2_saveexec_b64 s[2:3], s[22:23]
	s_cbranch_execz .LBB0_6
; %bb.5:                                ;   in Loop: Header=BB0_2 Depth=1
	v_cvt_f32_u32_e32 v1, s20
	s_sub_i32 s22, 0, s20
	v_rcp_iflag_f32_e32 v1, v1
	s_nop 0
	v_mul_f32_e32 v1, 0x4f7ffffe, v1
	v_cvt_u32_f32_e32 v1, v1
	v_mul_lo_u32 v5, s22, v1
	v_mul_hi_u32 v5, v1, v5
	v_add_u32_e32 v1, v1, v5
	v_mul_hi_u32 v1, v6, v1
	v_mul_lo_u32 v5, v1, s20
	v_sub_u32_e32 v5, v6, v5
	v_add_u32_e32 v8, 1, v1
	v_subrev_u32_e32 v9, s20, v5
	v_cmp_le_u32_e32 vcc, s20, v5
	s_nop 1
	v_cndmask_b32_e32 v5, v5, v9, vcc
	v_cndmask_b32_e32 v1, v1, v8, vcc
	v_add_u32_e32 v8, 1, v1
	v_cmp_le_u32_e32 vcc, s20, v5
	v_mov_b32_e32 v9, v4
	s_nop 0
	v_cndmask_b32_e32 v8, v1, v8, vcc
.LBB0_6:                                ;   in Loop: Header=BB0_2 Depth=1
	s_or_b64 exec, exec, s[2:3]
	v_mad_u64_u32 v[10:11], s[2:3], v8, s20, 0
	s_load_dwordx2 s[2:3], s[14:15], 0x0
	v_mul_lo_u32 v1, v9, s20
	v_mul_lo_u32 v5, v8, s21
	v_add3_u32 v1, v11, v5, v1
	v_sub_co_u32_e32 v5, vcc, v6, v10
	s_add_u32 s16, s16, 1
	s_nop 0
	v_subb_co_u32_e32 v1, vcc, v7, v1, vcc
	s_addc_u32 s17, s17, 0
	s_waitcnt lgkmcnt(0)
	v_mul_lo_u32 v1, s2, v1
	v_mul_lo_u32 v6, s3, v5
	v_mad_u64_u32 v[2:3], s[2:3], s2, v5, v[2:3]
	s_add_u32 s14, s14, 8
	v_add3_u32 v3, v6, v3, v1
	s_addc_u32 s15, s15, 0
	v_mov_b64_e32 v[6:7], s[6:7]
	s_add_u32 s18, s18, 8
	v_cmp_ge_u64_e32 vcc, s[16:17], v[6:7]
	s_addc_u32 s19, s19, 0
	s_cbranch_vccnz .LBB0_9
; %bb.7:                                ;   in Loop: Header=BB0_2 Depth=1
	v_mov_b64_e32 v[6:7], v[8:9]
	s_branch .LBB0_2
.LBB0_8:
	v_mov_b64_e32 v[8:9], v[6:7]
.LBB0_9:
	s_lshl_b64 s[2:3], s[6:7], 3
	s_add_u32 s2, s12, s2
	s_addc_u32 s3, s13, s3
	s_load_dwordx2 s[6:7], s[2:3], 0x0
	s_load_dwordx2 s[12:13], s[0:1], 0x20
	s_mov_b32 s2, 0x1a98ef7
                                        ; implicit-def: $vgpr54_vgpr55
                                        ; implicit-def: $vgpr79
                                        ; implicit-def: $vgpr82
                                        ; implicit-def: $vgpr83
	s_waitcnt lgkmcnt(0)
	v_mul_lo_u32 v1, s6, v9
	v_mul_lo_u32 v4, s7, v8
	v_mad_u64_u32 v[2:3], s[0:1], s6, v8, v[2:3]
	v_add3_u32 v3, v4, v3, v1
	v_mul_hi_u32 v1, v0, s2
	v_mul_u32_u24_e32 v1, 0x9a, v1
	v_cmp_gt_u64_e32 vcc, s[12:13], v[8:9]
	v_cmp_le_u64_e64 s[0:1], s[12:13], v[8:9]
	v_sub_u32_e32 v78, v0, v1
	s_and_saveexec_b64 s[2:3], s[0:1]
	s_xor_b64 s[0:1], exec, s[2:3]
; %bb.10:
	v_add_u32_e32 v79, 0x9a, v78
	v_add_u32_e32 v55, 0x1ce, v78
	;; [unrolled: 1-line block ×5, first 2 shown]
; %bb.11:
	s_or_saveexec_b64 s[0:1], s[0:1]
	v_lshl_add_u64 v[52:53], v[2:3], 4, s[10:11]
                                        ; implicit-def: $vgpr42_vgpr43
                                        ; implicit-def: $vgpr38_vgpr39
                                        ; implicit-def: $vgpr34_vgpr35
                                        ; implicit-def: $vgpr30_vgpr31
                                        ; implicit-def: $vgpr22_vgpr23
                                        ; implicit-def: $vgpr2_vgpr3
                                        ; implicit-def: $vgpr14_vgpr15
                                        ; implicit-def: $vgpr10_vgpr11
                                        ; implicit-def: $vgpr26_vgpr27
                                        ; implicit-def: $vgpr18_vgpr19
                                        ; implicit-def: $vgpr6_vgpr7
	s_xor_b64 exec, exec, s[0:1]
	s_cbranch_execz .LBB0_13
; %bb.12:
	v_mad_u64_u32 v[0:1], s[2:3], s8, v78, 0
	v_mov_b32_e32 v2, v1
	v_mad_u64_u32 v[2:3], s[2:3], s9, v78, v[2:3]
	v_add_u32_e32 v79, 0x9a, v78
	v_mov_b32_e32 v1, v2
	v_mad_u64_u32 v[2:3], s[2:3], s8, v79, 0
	v_mov_b32_e32 v4, v3
	v_mad_u64_u32 v[4:5], s[2:3], s9, v79, v[4:5]
	v_lshl_add_u64 v[0:1], v[0:1], 4, v[52:53]
	v_mov_b32_e32 v3, v4
	v_add_u32_e32 v54, 0x134, v78
	v_lshl_add_u64 v[2:3], v[2:3], 4, v[52:53]
	global_load_dwordx4 v[4:7], v[0:1], off
	global_load_dwordx4 v[16:19], v[2:3], off
	v_mad_u64_u32 v[0:1], s[2:3], s8, v54, 0
	v_mov_b32_e32 v2, v1
	v_add_u32_e32 v55, 0x1ce, v78
	v_mad_u64_u32 v[2:3], s[2:3], s9, v54, v[2:3]
	v_mov_b32_e32 v1, v2
	v_mad_u64_u32 v[2:3], s[2:3], s8, v55, 0
	v_mov_b32_e32 v8, v3
	v_mad_u64_u32 v[8:9], s[2:3], s9, v55, v[8:9]
	v_lshl_add_u64 v[0:1], v[0:1], 4, v[52:53]
	v_mov_b32_e32 v3, v8
	v_add_u32_e32 v82, 0x268, v78
	v_lshl_add_u64 v[2:3], v[2:3], 4, v[52:53]
	global_load_dwordx4 v[24:27], v[0:1], off
	global_load_dwordx4 v[8:11], v[2:3], off
	v_mad_u64_u32 v[0:1], s[2:3], s8, v82, 0
	v_mov_b32_e32 v2, v1
	v_mad_u64_u32 v[2:3], s[2:3], s9, v82, v[2:3]
	v_mov_b32_e32 v1, v2
	v_add_u32_e32 v83, 0x302, v78
	v_lshl_add_u64 v[20:21], v[0:1], 4, v[52:53]
	v_mad_u64_u32 v[0:1], s[2:3], s8, v83, 0
	v_mov_b32_e32 v2, v1
	v_mad_u64_u32 v[2:3], s[2:3], s9, v83, v[2:3]
	v_mov_b32_e32 v1, v2
	v_lshl_add_u64 v[22:23], v[0:1], 4, v[52:53]
	global_load_dwordx4 v[12:15], v[20:21], off
	global_load_dwordx4 v[0:3], v[22:23], off
	v_add_u32_e32 v23, 0x39c, v78
	v_mad_u64_u32 v[20:21], s[2:3], s8, v23, 0
	v_mov_b32_e32 v22, v21
	v_mad_u64_u32 v[22:23], s[2:3], s9, v23, v[22:23]
	v_mov_b32_e32 v21, v22
	v_add_u32_e32 v23, 0x436, v78
	v_lshl_add_u64 v[32:33], v[20:21], 4, v[52:53]
	v_mad_u64_u32 v[20:21], s[2:3], s8, v23, 0
	v_mov_b32_e32 v22, v21
	v_mad_u64_u32 v[22:23], s[2:3], s9, v23, v[22:23]
	v_mov_b32_e32 v21, v22
	v_lshl_add_u64 v[34:35], v[20:21], 4, v[52:53]
	global_load_dwordx4 v[20:23], v[32:33], off
	global_load_dwordx4 v[28:31], v[34:35], off
	v_add_u32_e32 v35, 0x4d0, v78
	;; [unrolled: 14-line block ×3, first 2 shown]
	v_mad_u64_u32 v[40:41], s[2:3], s8, v43, 0
	v_mov_b32_e32 v42, v41
	v_mad_u64_u32 v[42:43], s[2:3], s9, v43, v[42:43]
	v_mov_b32_e32 v41, v42
	v_lshl_add_u64 v[40:41], v[40:41], 4, v[52:53]
	global_load_dwordx4 v[40:43], v[40:41], off
.LBB0_13:
	s_or_b64 exec, exec, s[0:1]
	s_mov_b32 s2, 0x8764f0ba
	s_waitcnt vmcnt(0)
	v_add_f64 v[48:49], v[40:41], v[16:17]
	s_mov_b32 s3, 0x3feaeb8c
	s_mov_b32 s10, 0xf8bb580b
	v_add_f64 v[44:45], v[18:19], -v[42:43]
	v_mul_f64 v[46:47], v[48:49], s[2:3]
	s_mov_b32 s11, 0x3fe14ced
	s_mov_b32 s6, 0xd9c712b6
	v_fma_f64 v[50:51], s[10:11], v[44:45], v[46:47]
	s_mov_b32 s7, 0x3fda9628
	s_mov_b32 s12, 0x8eee2c13
	v_add_f64 v[60:61], v[36:37], v[24:25]
	v_add_f64 v[58:59], v[4:5], v[50:51]
	s_mov_b32 s13, 0x3fed1bb4
	v_add_f64 v[50:51], v[26:27], -v[38:39]
	v_mul_f64 v[56:57], v[60:61], s[6:7]
	v_fma_f64 v[62:63], s[12:13], v[50:51], v[56:57]
	s_mov_b32 s14, 0x640f44db
	v_add_f64 v[58:59], v[62:63], v[58:59]
	s_mov_b32 s15, 0xbfc2375f
	s_mov_b32 s18, 0x43842ef
	v_add_f64 v[62:63], v[32:33], v[8:9]
	s_mov_b32 s19, 0x3fefac9e
	v_add_f64 v[64:65], v[10:11], -v[34:35]
	v_mul_f64 v[66:67], v[62:63], s[14:15]
	v_fma_f64 v[68:69], s[18:19], v[64:65], v[66:67]
	s_mov_b32 s16, 0x7f775887
	v_add_f64 v[58:59], v[68:69], v[58:59]
	s_mov_b32 s17, 0xbfe4f49e
	s_mov_b32 s30, 0xbb3a28a1
	v_add_f64 v[68:69], v[28:29], v[12:13]
	s_mov_b32 s20, 0x9bcd5057
	s_mov_b32 s31, 0x3fe82f19
	v_add_f64 v[70:71], v[14:15], -v[30:31]
	v_mul_f64 v[74:75], v[68:69], s[16:17]
	s_mov_b32 s21, 0xbfeeb42a
	s_mov_b32 s22, 0xfd768dbf
	v_add_f64 v[76:77], v[20:21], v[0:1]
	v_fma_f64 v[72:73], s[30:31], v[70:71], v[74:75]
	s_mov_b32 s23, 0x3fd207e7
	v_add_f64 v[80:81], v[2:3], -v[22:23]
	v_mul_f64 v[84:85], v[76:77], s[20:21]
	v_add_f64 v[58:59], v[72:73], v[58:59]
	v_fma_f64 v[72:73], s[22:23], v[80:81], v[84:85]
	v_add_f64 v[58:59], v[72:73], v[58:59]
	v_add_f64 v[72:73], v[16:17], v[4:5]
	;; [unrolled: 1-line block ×10, first 2 shown]
	s_movk_i32 s0, 0x58
	v_add_f64 v[86:87], v[40:41], v[72:73]
	v_mad_u32_u24 v72, v78, s0, 0
	ds_write2_b64 v72, v[86:87], v[58:59] offset1:1
	v_mul_f64 v[58:59], v[48:49], s[6:7]
	v_fma_f64 v[86:87], s[12:13], v[44:45], v[58:59]
	v_mul_f64 v[88:89], v[60:61], s[16:17]
	v_add_f64 v[86:87], v[4:5], v[86:87]
	v_fma_f64 v[90:91], s[30:31], v[50:51], v[88:89]
	v_add_f64 v[86:87], v[90:91], v[86:87]
	v_mul_f64 v[90:91], v[48:49], s[14:15]
	v_fma_f64 v[92:93], s[18:19], v[44:45], v[90:91]
	s_mov_b32 s27, 0xbfd207e7
	s_mov_b32 s26, s22
	v_mul_f64 v[94:95], v[60:61], s[20:21]
	v_add_f64 v[92:93], v[4:5], v[92:93]
	v_fma_f64 v[96:97], s[26:27], v[50:51], v[94:95]
	v_add_f64 v[92:93], v[96:97], v[92:93]
	v_mul_f64 v[96:97], v[62:63], s[20:21]
	v_fma_f64 v[98:99], s[26:27], v[64:65], v[96:97]
	v_add_f64 v[86:87], v[98:99], v[86:87]
	s_mov_b32 s35, 0xbfed1bb4
	s_mov_b32 s34, s12
	v_mul_f64 v[98:99], v[62:63], s[6:7]
	v_fma_f64 v[100:101], s[34:35], v[64:65], v[98:99]
	v_add_f64 v[92:93], v[100:101], v[92:93]
	s_mov_b32 s25, 0xbfefac9e
	s_mov_b32 s24, s18
	v_mul_f64 v[100:101], v[68:69], s[14:15]
	v_fma_f64 v[102:103], s[24:25], v[70:71], v[100:101]
	v_add_f64 v[86:87], v[102:103], v[86:87]
	v_mul_f64 v[102:103], v[68:69], s[2:3]
	v_fma_f64 v[104:105], s[10:11], v[70:71], v[102:103]
	v_add_f64 v[92:93], v[104:105], v[92:93]
	s_mov_b32 s29, 0xbfe14ced
	s_mov_b32 s28, s10
	v_mul_f64 v[104:105], v[76:77], s[2:3]
	v_fma_f64 v[106:107], s[28:29], v[80:81], v[104:105]
	v_add_f64 v[86:87], v[106:107], v[86:87]
	v_mul_f64 v[106:107], v[76:77], s[16:17]
	v_fma_f64 v[108:109], s[30:31], v[80:81], v[106:107]
	v_add_f64 v[92:93], v[108:109], v[92:93]
	ds_write2_b64 v72, v[86:87], v[92:93] offset0:2 offset1:3
	v_mul_f64 v[86:87], v[48:49], s[16:17]
	v_fma_f64 v[92:93], s[30:31], v[44:45], v[86:87]
	v_mul_f64 v[108:109], v[60:61], s[14:15]
	v_add_f64 v[92:93], v[4:5], v[92:93]
	v_fma_f64 v[110:111], s[24:25], v[50:51], v[108:109]
	v_mul_f64 v[48:49], v[48:49], s[20:21]
	v_add_f64 v[92:93], v[110:111], v[92:93]
	;; [unrolled: 3-line block ×3, first 2 shown]
	v_fma_f64 v[112:113], s[28:29], v[50:51], v[60:61]
	v_add_f64 v[110:111], v[112:113], v[110:111]
	v_mul_f64 v[112:113], v[62:63], s[2:3]
	v_fma_f64 v[114:115], s[10:11], v[64:65], v[112:113]
	v_mul_f64 v[62:63], v[62:63], s[16:17]
	v_add_f64 v[92:93], v[114:115], v[92:93]
	v_fma_f64 v[114:115], s[30:31], v[64:65], v[62:63]
	v_add_f64 v[110:111], v[114:115], v[110:111]
	v_mul_f64 v[114:115], v[68:69], s[20:21]
	s_mov_b32 s31, 0xbfe82f19
	v_fma_f64 v[116:117], s[22:23], v[70:71], v[114:115]
	v_mul_f64 v[68:69], v[68:69], s[6:7]
	v_fmac_f64_e32 v[86:87], s[30:31], v[44:45]
	v_fmac_f64_e32 v[48:49], s[26:27], v[44:45]
	;; [unrolled: 1-line block ×5, first 2 shown]
	v_add_f64 v[92:93], v[116:117], v[92:93]
	v_fma_f64 v[116:117], s[34:35], v[70:71], v[68:69]
	v_add_f64 v[86:87], v[4:5], v[86:87]
	v_fmac_f64_e32 v[108:109], s[18:19], v[50:51]
	v_add_f64 v[48:49], v[4:5], v[48:49]
	v_fmac_f64_e32 v[60:61], s[10:11], v[50:51]
	;; [unrolled: 2-line block ×4, first 2 shown]
	v_fmac_f64_e32 v[94:95], s[22:23], v[50:51]
	v_add_f64 v[4:5], v[4:5], v[90:91]
	v_add_f64 v[110:111], v[116:117], v[110:111]
	v_mul_f64 v[116:117], v[76:77], s[6:7]
	v_add_f64 v[86:87], v[108:109], v[86:87]
	v_add_f64 v[48:49], v[60:61], v[48:49]
	v_fmac_f64_e32 v[112:113], s[28:29], v[64:65]
	v_fmac_f64_e32 v[62:63], s[30:31], v[64:65]
	v_add_f64 v[44:45], v[56:57], v[44:45]
	v_add_f64 v[46:47], v[88:89], v[46:47]
	;; [unrolled: 1-line block ×3, first 2 shown]
	v_fmac_f64_e32 v[66:67], s[24:25], v[64:65]
	v_fmac_f64_e32 v[96:97], s[22:23], v[64:65]
	;; [unrolled: 1-line block ×3, first 2 shown]
	v_fma_f64 v[118:119], s[34:35], v[80:81], v[116:117]
	v_mul_f64 v[76:77], v[76:77], s[14:15]
	v_add_f64 v[60:61], v[112:113], v[86:87]
	v_add_f64 v[48:49], v[62:63], v[48:49]
	v_fmac_f64_e32 v[114:115], s[26:27], v[70:71]
	v_fmac_f64_e32 v[68:69], s[12:13], v[70:71]
	v_add_f64 v[44:45], v[66:67], v[44:45]
	v_add_f64 v[46:47], v[96:97], v[46:47]
	;; [unrolled: 1-line block ×3, first 2 shown]
	v_fmac_f64_e32 v[74:75], s[30:31], v[70:71]
	v_fmac_f64_e32 v[100:101], s[18:19], v[70:71]
	;; [unrolled: 1-line block ×3, first 2 shown]
	v_add_f64 v[92:93], v[118:119], v[92:93]
	v_fma_f64 v[118:119], s[18:19], v[80:81], v[76:77]
	v_add_f64 v[60:61], v[114:115], v[60:61]
	v_add_f64 v[48:49], v[68:69], v[48:49]
	v_fmac_f64_e32 v[116:117], s[12:13], v[80:81]
	v_fmac_f64_e32 v[76:77], s[24:25], v[80:81]
	v_add_f64 v[44:45], v[74:75], v[44:45]
	v_add_f64 v[46:47], v[100:101], v[46:47]
	;; [unrolled: 1-line block ×3, first 2 shown]
	v_fmac_f64_e32 v[84:85], s[26:27], v[80:81]
	v_fmac_f64_e32 v[104:105], s[10:11], v[80:81]
	;; [unrolled: 1-line block ×3, first 2 shown]
	v_add_f64 v[110:111], v[118:119], v[110:111]
	v_add_f64 v[60:61], v[116:117], v[60:61]
	;; [unrolled: 1-line block ×6, first 2 shown]
	s_movk_i32 s0, 0xffb0
	ds_write2_b64 v72, v[92:93], v[110:111] offset0:4 offset1:5
	ds_write2_b64 v72, v[48:49], v[60:61] offset0:6 offset1:7
	;; [unrolled: 1-line block ×3, first 2 shown]
	ds_write_b64 v72, v[56:57] offset:80
	v_mad_i32_i24 v5, v78, s0, v72
	v_add_u32_e32 v44, 0x1800, v5
	v_add_u32_e32 v45, 0x2400, v5
	s_waitcnt lgkmcnt(0)
	s_barrier
	v_lshl_add_u32 v80, v79, 3, 0
	v_lshl_add_u32 v84, v54, 3, 0
	;; [unrolled: 1-line block ×4, first 2 shown]
	ds_read_b64 v[62:63], v5
	ds_read_b64 v[58:59], v5 offset:11704
	ds_read_b64 v[64:65], v80
	ds_read_b64 v[66:67], v84
	;; [unrolled: 1-line block ×4, first 2 shown]
	ds_read2_b64 v[48:51], v44 offset0:79 offset1:233
	ds_read2_b64 v[44:47], v45 offset0:3 offset1:157
	v_mul_i32_i24_e32 v4, 0xffffffb0, v78
	s_movk_i32 s0, 0x4d
	v_cmp_gt_u32_e64 s[0:1], s0, v78
	v_add_u32_e32 v81, v72, v4
	v_lshl_add_u32 v87, v83, 3, 0
                                        ; implicit-def: $vgpr60_vgpr61
	s_and_saveexec_b64 s[36:37], s[0:1]
	s_cbranch_execz .LBB0_15
; %bb.14:
	ds_read_b64 v[56:57], v87
	ds_read_b64 v[60:61], v81 offset:12936
.LBB0_15:
	s_or_b64 exec, exec, s[36:37]
	v_add_f64 v[4:5], v[18:19], v[6:7]
	v_add_f64 v[4:5], v[26:27], v[4:5]
	;; [unrolled: 1-line block ×8, first 2 shown]
	v_add_f64 v[16:17], v[16:17], -v[40:41]
	v_add_f64 v[4:5], v[38:39], v[4:5]
	v_add_f64 v[18:19], v[42:43], v[18:19]
	v_mul_f64 v[40:41], v[16:17], s[28:29]
	v_mul_f64 v[74:75], v[16:17], s[34:35]
	;; [unrolled: 1-line block ×5, first 2 shown]
	v_add_f64 v[4:5], v[42:43], v[4:5]
	v_fma_f64 v[42:43], s[2:3], v[18:19], v[40:41]
	v_fma_f64 v[40:41], v[18:19], s[2:3], -v[40:41]
	v_fma_f64 v[76:77], s[6:7], v[18:19], v[74:75]
	v_fma_f64 v[74:75], v[18:19], s[6:7], -v[74:75]
	;; [unrolled: 2-line block ×5, first 2 shown]
	v_add_f64 v[18:19], v[24:25], -v[36:37]
	v_add_f64 v[42:43], v[6:7], v[42:43]
	v_add_f64 v[40:41], v[6:7], v[40:41]
	;; [unrolled: 1-line block ×11, first 2 shown]
	v_mul_f64 v[24:25], v[18:19], s[34:35]
	v_fma_f64 v[26:27], s[6:7], v[16:17], v[24:25]
	v_fma_f64 v[24:25], v[16:17], s[6:7], -v[24:25]
	v_mul_f64 v[36:37], v[18:19], s[30:31]
	v_add_f64 v[24:25], v[24:25], v[40:41]
	v_fma_f64 v[38:39], s[16:17], v[16:17], v[36:37]
	v_fma_f64 v[36:37], v[16:17], s[16:17], -v[36:37]
	v_mul_f64 v[40:41], v[18:19], s[22:23]
	v_add_f64 v[26:27], v[26:27], v[42:43]
	v_add_f64 v[36:37], v[36:37], v[74:75]
	v_fma_f64 v[42:43], s[20:21], v[16:17], v[40:41]
	v_fma_f64 v[40:41], v[16:17], s[20:21], -v[40:41]
	v_mul_f64 v[74:75], v[18:19], s[18:19]
	v_mul_f64 v[18:19], v[18:19], s[10:11]
	v_add_f64 v[38:39], v[38:39], v[76:77]
	v_add_f64 v[40:41], v[40:41], v[88:89]
	v_fma_f64 v[76:77], s[14:15], v[16:17], v[74:75]
	v_fma_f64 v[74:75], v[16:17], s[14:15], -v[74:75]
	v_fma_f64 v[88:89], s[2:3], v[16:17], v[18:19]
	v_fma_f64 v[16:17], v[16:17], s[2:3], -v[18:19]
	v_add_f64 v[8:9], v[8:9], -v[32:33]
	v_add_f64 v[6:7], v[16:17], v[6:7]
	v_add_f64 v[10:11], v[34:35], v[10:11]
	v_mul_f64 v[16:17], v[8:9], s[24:25]
	v_fma_f64 v[18:19], s[14:15], v[10:11], v[16:17]
	v_fma_f64 v[16:17], v[10:11], s[14:15], -v[16:17]
	v_add_f64 v[16:17], v[16:17], v[24:25]
	v_mul_f64 v[24:25], v[8:9], s[22:23]
	v_add_f64 v[18:19], v[18:19], v[26:27]
	v_fma_f64 v[26:27], s[20:21], v[10:11], v[24:25]
	v_fma_f64 v[24:25], v[10:11], s[20:21], -v[24:25]
	v_mul_f64 v[32:33], v[8:9], s[12:13]
	v_add_f64 v[24:25], v[24:25], v[36:37]
	v_fma_f64 v[34:35], s[6:7], v[10:11], v[32:33]
	v_fma_f64 v[32:33], v[10:11], s[6:7], -v[32:33]
	v_mul_f64 v[36:37], v[8:9], s[28:29]
	v_mul_f64 v[8:9], v[8:9], s[30:31]
	v_add_f64 v[26:27], v[26:27], v[38:39]
	v_add_f64 v[32:33], v[32:33], v[40:41]
	v_fma_f64 v[38:39], s[2:3], v[10:11], v[36:37]
	v_fma_f64 v[36:37], v[10:11], s[2:3], -v[36:37]
	v_fma_f64 v[40:41], s[16:17], v[10:11], v[8:9]
	v_fma_f64 v[8:9], v[10:11], s[16:17], -v[8:9]
	v_add_f64 v[10:11], v[12:13], -v[28:29]
	v_add_f64 v[6:7], v[8:9], v[6:7]
	v_add_f64 v[8:9], v[30:31], v[14:15]
	v_mul_f64 v[12:13], v[10:11], s[30:31]
	v_fma_f64 v[14:15], s[16:17], v[8:9], v[12:13]
	v_fma_f64 v[12:13], v[8:9], s[16:17], -v[12:13]
	v_add_f64 v[12:13], v[12:13], v[16:17]
	v_mul_f64 v[16:17], v[10:11], s[18:19]
	v_add_f64 v[14:15], v[14:15], v[18:19]
	v_fma_f64 v[18:19], s[14:15], v[8:9], v[16:17]
	v_fma_f64 v[16:17], v[8:9], s[14:15], -v[16:17]
	v_add_f64 v[16:17], v[16:17], v[24:25]
	v_mul_f64 v[24:25], v[10:11], s[28:29]
	v_add_f64 v[18:19], v[18:19], v[26:27]
	v_fma_f64 v[26:27], s[2:3], v[8:9], v[24:25]
	v_fma_f64 v[24:25], v[8:9], s[2:3], -v[24:25]
	v_mul_f64 v[28:29], v[10:11], s[26:27]
	v_mul_f64 v[10:11], v[10:11], s[12:13]
	v_add_f64 v[24:25], v[24:25], v[32:33]
	v_fma_f64 v[30:31], s[20:21], v[8:9], v[28:29]
	v_fma_f64 v[28:29], v[8:9], s[20:21], -v[28:29]
	v_fma_f64 v[32:33], s[6:7], v[8:9], v[10:11]
	v_fma_f64 v[8:9], v[8:9], s[6:7], -v[10:11]
	v_add_f64 v[6:7], v[8:9], v[6:7]
	v_add_f64 v[8:9], v[0:1], -v[20:21]
	v_add_f64 v[2:3], v[22:23], v[2:3]
	v_mul_f64 v[0:1], v[8:9], s[26:27]
	v_fma_f64 v[10:11], s[20:21], v[2:3], v[0:1]
	v_fma_f64 v[0:1], v[2:3], s[20:21], -v[0:1]
	v_add_f64 v[0:1], v[0:1], v[12:13]
	v_mul_f64 v[12:13], v[8:9], s[10:11]
	v_add_f64 v[10:11], v[10:11], v[14:15]
	v_fma_f64 v[14:15], s[2:3], v[2:3], v[12:13]
	v_fma_f64 v[12:13], v[2:3], s[2:3], -v[12:13]
	v_add_f64 v[12:13], v[12:13], v[16:17]
	v_mul_f64 v[16:17], v[8:9], s[30:31]
	v_add_f64 v[42:43], v[42:43], v[90:91]
	v_add_f64 v[76:77], v[76:77], v[94:95]
	;; [unrolled: 1-line block ×5, first 2 shown]
	v_fma_f64 v[18:19], s[16:17], v[2:3], v[16:17]
	v_fma_f64 v[16:17], v[2:3], s[16:17], -v[16:17]
	v_mul_f64 v[20:21], v[8:9], s[12:13]
	v_mul_f64 v[8:9], v[8:9], s[24:25]
	v_add_f64 v[34:35], v[34:35], v[42:43]
	v_add_f64 v[38:39], v[38:39], v[76:77]
	;; [unrolled: 1-line block ×5, first 2 shown]
	v_fma_f64 v[22:23], s[6:7], v[2:3], v[20:21]
	v_fma_f64 v[20:21], v[2:3], s[6:7], -v[20:21]
	v_fma_f64 v[24:25], s[14:15], v[2:3], v[8:9]
	v_fma_f64 v[2:3], v[2:3], s[14:15], -v[8:9]
	v_add_f64 v[26:27], v[26:27], v[34:35]
	v_add_f64 v[30:31], v[30:31], v[38:39]
	;; [unrolled: 1-line block ×9, first 2 shown]
	s_waitcnt lgkmcnt(0)
	s_barrier
	ds_write2_b64 v72, v[4:5], v[10:11] offset1:1
	ds_write2_b64 v72, v[14:15], v[18:19] offset0:2 offset1:3
	ds_write2_b64 v72, v[22:23], v[24:25] offset0:4 offset1:5
	;; [unrolled: 1-line block ×4, first 2 shown]
	ds_write_b64 v72, v[0:1] offset:80
	v_add_u32_e32 v2, 0x1800, v81
	s_waitcnt lgkmcnt(0)
	s_barrier
	ds_read2_b64 v[8:11], v2 offset0:79 offset1:233
	v_add_u32_e32 v2, 0x2400, v81
	ds_read2_b64 v[4:7], v2 offset0:3 offset1:157
	ds_read_b64 v[42:43], v80
	ds_read_b64 v[40:41], v84
	;; [unrolled: 1-line block ×5, first 2 shown]
	ds_read_b64 v[74:75], v81 offset:11704
                                        ; implicit-def: $vgpr76_vgpr77
	s_and_saveexec_b64 s[2:3], s[0:1]
	s_cbranch_execz .LBB0_17
; %bb.16:
	ds_read_b64 v[0:1], v87
	ds_read_b64 v[76:77], v81 offset:12936
.LBB0_17:
	s_or_b64 exec, exec, s[2:3]
	s_movk_i32 s2, 0x75
	v_mul_lo_u16_sdwa v2, v78, s2 dst_sel:DWORD dst_unused:UNUSED_PAD src0_sel:BYTE_0 src1_sel:DWORD
	s_mov_b32 s2, 0xba2f
	v_mul_u32_u24_sdwa v12, v54, s2 dst_sel:DWORD dst_unused:UNUSED_PAD src0_sel:WORD_0 src1_sel:DWORD
	v_lshrrev_b32_e32 v88, 19, v12
	v_mul_lo_u16_e32 v12, 11, v88
	v_sub_u16_e32 v89, v54, v12
	v_mul_u32_u24_sdwa v12, v55, s2 dst_sel:DWORD dst_unused:UNUSED_PAD src0_sel:WORD_0 src1_sel:DWORD
	v_lshrrev_b32_e32 v54, 19, v12
	v_mul_lo_u16_e32 v12, 11, v54
	v_lshlrev_b32_e32 v20, 4, v89
	v_sub_u16_e32 v55, v55, v12
	v_lshlrev_b32_e32 v21, 4, v55
	global_load_dwordx4 v[16:19], v20, s[4:5]
	global_load_dwordx4 v[12:15], v21, s[4:5]
	v_mul_u32_u24_sdwa v20, v82, s2 dst_sel:DWORD dst_unused:UNUSED_PAD src0_sel:WORD_0 src1_sel:DWORD
	v_sub_u16_sdwa v3, v78, v2 dst_sel:DWORD dst_unused:UNUSED_PAD src0_sel:DWORD src1_sel:BYTE_1
	v_lshrrev_b32_e32 v90, 19, v20
	v_lshrrev_b16_e32 v3, 1, v3
	v_mul_lo_u16_e32 v20, 11, v90
	v_and_b32_e32 v3, 0x7f, v3
	v_sub_u16_e32 v82, v82, v20
	v_mul_u32_u24_sdwa v20, v83, s2 dst_sel:DWORD dst_unused:UNUSED_PAD src0_sel:WORD_0 src1_sel:DWORD
	v_lshrrev_b32_e32 v91, 19, v20
	v_add_u16_sdwa v2, v3, v2 dst_sel:DWORD dst_unused:UNUSED_PAD src0_sel:DWORD src1_sel:BYTE_1
	v_mul_lo_u16_e32 v20, 11, v91
	v_lshrrev_b16_e32 v2, 3, v2
	v_lshlrev_b32_e32 v28, 4, v82
	v_sub_u16_e32 v100, v83, v20
	v_mul_lo_u16_e32 v3, 11, v2
	v_lshlrev_b32_e32 v29, 4, v100
	global_load_dwordx4 v[24:27], v28, s[4:5]
	global_load_dwordx4 v[20:23], v29, s[4:5]
	v_sub_u16_e32 v3, v78, v3
	v_mov_b32_e32 v28, 4
	v_lshlrev_b32_sdwa v83, v28, v3 dst_sel:DWORD dst_unused:UNUSED_PAD src0_sel:DWORD src1_sel:BYTE_0
	v_mul_u32_u24_sdwa v28, v79, s2 dst_sel:DWORD dst_unused:UNUSED_PAD src0_sel:WORD_0 src1_sel:DWORD
	v_lshrrev_b32_e32 v92, 19, v28
	v_mul_lo_u16_e32 v28, 11, v92
	v_sub_u16_e32 v93, v79, v28
	v_lshlrev_b32_e32 v94, 4, v93
	global_load_dwordx4 v[32:35], v83, s[4:5]
	global_load_dwordx4 v[28:31], v94, s[4:5]
	s_mov_b32 s3, 0x5040100
	s_movk_i32 s2, 0xb0
	v_perm_b32 v88, v54, v88, s3
	v_mov_b32_e32 v94, 3
	v_pk_mul_lo_u16 v88, v88, s2 op_sel_hi:[1,0]
	v_mul_u32_u24_e32 v83, 0xb0, v92
	v_mul_u32_u24_e32 v90, 0xb0, v90
	v_mul_lo_u16_e32 v54, 22, v91
	v_lshlrev_b32_e32 v91, 3, v93
	v_and_b32_e32 v92, 0xfff0, v88
	v_lshlrev_b32_e32 v89, 3, v89
	v_lshrrev_b32_e32 v88, 16, v88
	v_lshlrev_b32_e32 v93, 3, v55
	v_lshlrev_b32_e32 v95, 3, v82
	v_mul_u32_u24_e32 v2, 0xb0, v2
	v_lshlrev_b32_sdwa v3, v94, v3 dst_sel:DWORD dst_unused:UNUSED_PAD src0_sel:DWORD src1_sel:BYTE_0
	v_add3_u32 v55, 0, v83, v91
	v_add3_u32 v82, 0, v92, v89
	;; [unrolled: 1-line block ×5, first 2 shown]
	s_waitcnt lgkmcnt(0)
	s_barrier
	s_waitcnt vmcnt(5)
	v_mul_f64 v[2:3], v[4:5], v[18:19]
	v_fma_f64 v[2:3], v[44:45], v[16:17], -v[2:3]
	v_add_f64 v[96:97], v[66:67], -v[2:3]
	s_waitcnt vmcnt(4)
	v_mul_f64 v[90:91], v[6:7], v[14:15]
	v_fma_f64 v[90:91], v[46:47], v[12:13], -v[90:91]
	v_add_f64 v[90:91], v[68:69], -v[90:91]
	v_fma_f64 v[66:67], v[66:67], 2.0, -v[96:97]
	v_fma_f64 v[68:69], v[68:69], 2.0, -v[90:91]
	s_waitcnt vmcnt(3)
	v_mul_f64 v[92:93], v[74:75], v[26:27]
	s_waitcnt vmcnt(2)
	v_mul_f64 v[94:95], v[76:77], v[22:23]
	v_fma_f64 v[94:95], v[60:61], v[20:21], -v[94:95]
	v_add_f64 v[2:3], v[56:57], -v[94:95]
	v_fma_f64 v[92:93], v[58:59], v[24:25], -v[92:93]
	v_add_f64 v[92:93], v[70:71], -v[92:93]
	v_fma_f64 v[70:71], v[70:71], 2.0, -v[92:93]
	s_waitcnt vmcnt(1)
	v_mul_f64 v[94:95], v[8:9], v[34:35]
	s_waitcnt vmcnt(0)
	v_mul_f64 v[98:99], v[10:11], v[30:31]
	v_fma_f64 v[94:95], v[48:49], v[32:33], -v[94:95]
	v_fma_f64 v[98:99], v[50:51], v[28:29], -v[98:99]
	v_add_f64 v[94:95], v[62:63], -v[94:95]
	v_add_f64 v[98:99], v[64:65], -v[98:99]
	v_fma_f64 v[62:63], v[62:63], 2.0, -v[94:95]
	v_fma_f64 v[64:65], v[64:65], 2.0, -v[98:99]
	ds_write2_b64 v89, v[62:63], v[94:95] offset1:11
	ds_write2_b64 v55, v[64:65], v[98:99] offset1:11
	;; [unrolled: 1-line block ×5, first 2 shown]
	v_lshlrev_b32_e32 v62, 3, v100
	s_and_saveexec_b64 s[2:3], s[0:1]
	s_cbranch_execz .LBB0_19
; %bb.18:
	v_lshlrev_b32_e32 v63, 3, v54
	v_fma_f64 v[56:57], v[56:57], 2.0, -v[2:3]
	v_add3_u32 v63, 0, v62, v63
	ds_write2_b64 v63, v[56:57], v[2:3] offset1:11
.LBB0_19:
	s_or_b64 exec, exec, s[2:3]
	v_mul_f64 v[34:35], v[48:49], v[34:35]
	v_fmac_f64_e32 v[34:35], v[8:9], v[32:33]
	v_mul_f64 v[8:9], v[50:51], v[30:31]
	v_fmac_f64_e32 v[8:9], v[10:11], v[28:29]
	;; [unrolled: 2-line block ×4, first 2 shown]
	v_mul_f64 v[6:7], v[58:59], v[26:27]
	v_mul_f64 v[12:13], v[60:61], v[22:23]
	v_fmac_f64_e32 v[6:7], v[74:75], v[24:25]
	v_fmac_f64_e32 v[12:13], v[76:77], v[20:21]
	s_waitcnt lgkmcnt(0)
	s_barrier
	ds_read_b64 v[24:25], v81
	ds_read_b64 v[32:33], v80
	ds_read_b64 v[28:29], v84
	ds_read_b64 v[22:23], v85
	ds_read_b64 v[20:21], v86
	v_add_f64 v[46:47], v[38:39], -v[4:5]
	v_add_u32_e32 v4, 0x1c00, v81
	v_add_u32_e32 v5, 0x2400, v81
	v_add_f64 v[16:17], v[72:73], -v[34:35]
	v_add_f64 v[34:35], v[42:43], -v[8:9]
	v_add_f64 v[44:45], v[40:41], -v[10:11]
	v_add_f64 v[48:49], v[36:37], -v[6:7]
	v_add_f64 v[6:7], v[0:1], -v[12:13]
	ds_read2_b64 v[12:15], v4 offset0:28 offset1:182
	ds_read2_b64 v[8:11], v5 offset0:80 offset1:234
	ds_read_b64 v[30:31], v87
	ds_read_b64 v[26:27], v81 offset:12320
	v_fma_f64 v[18:19], v[72:73], 2.0, -v[16:17]
	v_fma_f64 v[42:43], v[42:43], 2.0, -v[34:35]
	;; [unrolled: 1-line block ×5, first 2 shown]
	s_waitcnt lgkmcnt(0)
	s_barrier
	ds_write2_b64 v89, v[18:19], v[16:17] offset1:11
	ds_write2_b64 v55, v[42:43], v[34:35] offset1:11
	;; [unrolled: 1-line block ×5, first 2 shown]
	s_and_saveexec_b64 s[2:3], s[0:1]
	s_cbranch_execz .LBB0_21
; %bb.20:
	v_lshlrev_b32_e32 v16, 3, v54
	v_fma_f64 v[0:1], v[0:1], 2.0, -v[6:7]
	v_add3_u32 v16, 0, v62, v16
	ds_write2_b64 v16, v[0:1], v[6:7] offset1:11
.LBB0_21:
	s_or_b64 exec, exec, s[2:3]
	v_lshrrev_b16_e32 v0, 1, v78
	v_and_b32_e32 v0, 0x7f, v0
	v_mul_lo_u16_e32 v0, 0xbb, v0
	v_lshrrev_b16_e32 v118, 11, v0
	v_mul_lo_u16_e32 v0, 22, v118
	v_sub_u16_e32 v119, v78, v0
	v_mov_b32_e32 v0, 10
	v_mul_u32_u24_sdwa v0, v119, v0 dst_sel:DWORD dst_unused:UNUSED_PAD src0_sel:BYTE_0 src1_sel:DWORD
	v_lshlrev_b32_e32 v0, 4, v0
	s_waitcnt lgkmcnt(0)
	s_barrier
	global_load_dwordx4 v[34:37], v0, s[4:5] offset:176
	global_load_dwordx4 v[40:43], v0, s[4:5] offset:192
	;; [unrolled: 1-line block ×10, first 2 shown]
	ds_read_b64 v[18:19], v81
	ds_read_b64 v[0:1], v80
	;; [unrolled: 1-line block ×5, first 2 shown]
	ds_read2_b64 v[82:85], v4 offset0:28 offset1:182
	ds_read2_b64 v[104:107], v5 offset0:80 offset1:234
	ds_read_b64 v[86:87], v87
	ds_read_b64 v[110:111], v81 offset:12320
	s_mov_b32 s16, 0x8eee2c13
	s_mov_b32 s17, 0xbfed1bb4
	;; [unrolled: 1-line block ×24, first 2 shown]
	s_waitcnt lgkmcnt(0)
	s_barrier
	s_movk_i32 s0, 0x58
	v_cmp_gt_u32_e64 s[0:1], s0, v78
	s_waitcnt vmcnt(9)
	v_mul_f64 v[46:47], v[0:1], v[36:37]
	v_mul_f64 v[64:65], v[32:33], v[36:37]
	s_waitcnt vmcnt(8)
	v_mul_f64 v[62:63], v[54:55], v[42:43]
	v_mul_f64 v[56:57], v[28:29], v[42:43]
	s_waitcnt vmcnt(6)
	v_mul_f64 v[112:113], v[108:109], v[60:61]
	s_waitcnt vmcnt(5)
	v_mul_f64 v[114:115], v[86:87], v[68:69]
	v_mul_f64 v[4:5], v[30:31], v[68:69]
	v_fma_f64 v[68:69], v[32:33], v[34:35], -v[46:47]
	v_fmac_f64_e32 v[64:65], v[0:1], v[34:35]
	s_waitcnt vmcnt(1)
	v_mul_f64 v[0:1], v[106:107], v[98:99]
	v_mul_f64 v[42:43], v[76:77], v[50:51]
	;; [unrolled: 1-line block ×3, first 2 shown]
	v_fma_f64 v[62:63], v[28:29], v[40:41], -v[62:63]
	v_fmac_f64_e32 v[56:57], v[54:55], v[40:41]
	v_fma_f64 v[40:41], v[20:21], v[58:59], -v[112:113]
	v_fma_f64 v[20:21], v[30:31], v[66:67], -v[114:115]
	v_fmac_f64_e32 v[4:5], v[86:87], v[66:67]
	v_fma_f64 v[66:67], v[10:11], v[96:97], -v[0:1]
	v_add_f64 v[0:1], v[24:25], v[68:69]
	v_mul_f64 v[44:45], v[22:23], v[50:51]
	v_fma_f64 v[50:51], v[22:23], v[48:49], -v[42:43]
	v_add_f64 v[0:1], v[0:1], v[62:63]
	v_add_f64 v[0:1], v[0:1], v[50:51]
	v_mul_f64 v[116:117], v[82:83], v[74:75]
	v_add_f64 v[0:1], v[0:1], v[40:41]
	v_mul_f64 v[16:17], v[12:13], v[74:75]
	v_mul_f64 v[74:75], v[84:85], v[90:91]
	s_waitcnt vmcnt(0)
	v_mul_f64 v[70:71], v[26:27], v[102:103]
	v_fma_f64 v[22:23], v[12:13], v[72:73], -v[116:117]
	v_add_f64 v[0:1], v[0:1], v[20:21]
	v_mul_f64 v[38:39], v[14:15], v[90:91]
	v_mul_f64 v[90:91], v[104:105], v[94:95]
	;; [unrolled: 1-line block ×3, first 2 shown]
	v_fma_f64 v[42:43], v[14:15], v[88:89], -v[74:75]
	v_fmac_f64_e32 v[70:71], v[110:111], v[100:101]
	v_add_f64 v[0:1], v[0:1], v[22:23]
	v_mul_f64 v[60:61], v[10:11], v[98:99]
	v_fmac_f64_e32 v[36:37], v[108:109], v[58:59]
	v_fmac_f64_e32 v[16:17], v[82:83], v[72:73]
	v_fma_f64 v[58:59], v[8:9], v[92:93], -v[90:91]
	v_fma_f64 v[72:73], v[26:27], v[100:101], -v[32:33]
	v_add_f64 v[10:11], v[64:65], -v[70:71]
	v_add_f64 v[0:1], v[0:1], v[42:43]
	v_mul_f64 v[46:47], v[8:9], v[94:95]
	v_add_f64 v[8:9], v[68:69], v[72:73]
	v_mul_f64 v[14:15], v[10:11], s[16:17]
	v_add_f64 v[0:1], v[0:1], v[58:59]
	v_fma_f64 v[28:29], v[8:9], s[6:7], -v[14:15]
	v_fmac_f64_e32 v[14:15], s[6:7], v[8:9]
	v_add_f64 v[0:1], v[0:1], v[66:67]
	v_mul_f64 v[12:13], v[10:11], s[10:11]
	v_add_f64 v[30:31], v[0:1], v[72:73]
	v_add_f64 v[0:1], v[24:25], v[14:15]
	v_mul_f64 v[14:15], v[10:11], s[12:13]
	v_mul_f64 v[34:35], v[10:11], s[18:19]
	;; [unrolled: 1-line block ×3, first 2 shown]
	v_fmac_f64_e32 v[44:45], v[76:77], v[48:49]
	v_fmac_f64_e32 v[60:61], v[106:107], v[96:97]
	v_fma_f64 v[26:27], v[8:9], s[2:3], -v[12:13]
	v_fmac_f64_e32 v[12:13], s[2:3], v[8:9]
	v_fma_f64 v[32:33], v[8:9], s[14:15], -v[14:15]
	;; [unrolled: 2-line block ×4, first 2 shown]
	v_fmac_f64_e32 v[10:11], s[24:25], v[8:9]
	v_add_f64 v[26:27], v[24:25], v[26:27]
	v_add_f64 v[12:13], v[24:25], v[12:13]
	;; [unrolled: 1-line block ×9, first 2 shown]
	v_add_f64 v[24:25], v[56:57], -v[60:61]
	v_add_f64 v[10:11], v[62:63], v[66:67]
	v_mul_f64 v[74:75], v[24:25], s[16:17]
	v_fma_f64 v[76:77], v[10:11], s[6:7], -v[74:75]
	v_fmac_f64_e32 v[74:75], s[6:7], v[10:11]
	v_add_f64 v[12:13], v[74:75], v[12:13]
	v_mul_f64 v[74:75], v[24:25], s[18:19]
	v_add_f64 v[26:27], v[76:77], v[26:27]
	v_fma_f64 v[76:77], v[10:11], s[20:21], -v[74:75]
	v_fmac_f64_e32 v[74:75], s[20:21], v[10:11]
	v_add_f64 v[0:1], v[74:75], v[0:1]
	v_mul_f64 v[74:75], v[24:25], s[34:35]
	v_add_f64 v[28:29], v[76:77], v[28:29]
	;; [unrolled: 5-line block ×3, first 2 shown]
	v_fma_f64 v[76:77], v[10:11], s[14:15], -v[74:75]
	v_fmac_f64_e32 v[74:75], s[14:15], v[10:11]
	v_mul_f64 v[24:25], v[24:25], s[26:27]
	v_fmac_f64_e32 v[46:47], v[104:105], v[92:93]
	v_add_f64 v[34:35], v[74:75], v[34:35]
	v_fma_f64 v[74:75], v[10:11], s[2:3], -v[24:25]
	v_fmac_f64_e32 v[24:25], s[2:3], v[10:11]
	v_add_f64 v[8:9], v[24:25], v[8:9]
	v_add_f64 v[24:25], v[44:45], -v[46:47]
	v_add_f64 v[54:55], v[74:75], v[54:55]
	v_add_f64 v[10:11], v[50:51], v[58:59]
	v_mul_f64 v[74:75], v[24:25], s[12:13]
	v_add_f64 v[48:49], v[76:77], v[48:49]
	v_fma_f64 v[76:77], v[10:11], s[14:15], -v[74:75]
	v_fmac_f64_e32 v[74:75], s[14:15], v[10:11]
	v_add_f64 v[12:13], v[74:75], v[12:13]
	v_mul_f64 v[74:75], v[24:25], s[34:35]
	v_add_f64 v[26:27], v[76:77], v[26:27]
	v_fma_f64 v[76:77], v[10:11], s[24:25], -v[74:75]
	v_fmac_f64_e32 v[74:75], s[24:25], v[10:11]
	;; [unrolled: 5-line block ×4, first 2 shown]
	v_mul_f64 v[24:25], v[24:25], s[18:19]
	v_fmac_f64_e32 v[38:39], v[84:85], v[88:89]
	v_add_f64 v[34:35], v[74:75], v[34:35]
	v_fma_f64 v[74:75], v[10:11], s[20:21], -v[24:25]
	v_fmac_f64_e32 v[24:25], s[20:21], v[10:11]
	v_add_f64 v[8:9], v[24:25], v[8:9]
	v_add_f64 v[24:25], v[36:37], -v[38:39]
	v_add_f64 v[54:55], v[74:75], v[54:55]
	v_add_f64 v[10:11], v[40:41], v[42:43]
	v_mul_f64 v[74:75], v[24:25], s[18:19]
	v_add_f64 v[48:49], v[76:77], v[48:49]
	v_fma_f64 v[76:77], v[10:11], s[20:21], -v[74:75]
	v_fmac_f64_e32 v[74:75], s[20:21], v[10:11]
	v_add_f64 v[12:13], v[74:75], v[12:13]
	v_mul_f64 v[74:75], v[24:25], s[30:31]
	v_add_f64 v[26:27], v[76:77], v[26:27]
	v_fma_f64 v[76:77], v[10:11], s[14:15], -v[74:75]
	v_fmac_f64_e32 v[74:75], s[14:15], v[10:11]
	;; [unrolled: 5-line block ×4, first 2 shown]
	v_add_f64 v[34:35], v[0:1], v[34:35]
	v_mul_f64 v[0:1], v[24:25], s[28:29]
	v_fma_f64 v[24:25], v[10:11], s[6:7], -v[0:1]
	v_fmac_f64_e32 v[0:1], s[6:7], v[10:11]
	v_add_f64 v[82:83], v[4:5], -v[16:17]
	v_add_f64 v[48:49], v[76:77], v[48:49]
	v_add_f64 v[24:25], v[24:25], v[54:55]
	v_add_f64 v[54:55], v[0:1], v[8:9]
	v_add_f64 v[76:77], v[20:21], v[22:23]
	v_mul_f64 v[0:1], v[82:83], s[22:23]
	v_fma_f64 v[8:9], v[76:77], s[24:25], -v[0:1]
	v_add_f64 v[26:27], v[8:9], v[26:27]
	v_mul_f64 v[8:9], v[82:83], s[26:27]
	v_fmac_f64_e32 v[0:1], s[24:25], v[76:77]
	v_fma_f64 v[10:11], v[76:77], s[2:3], -v[8:9]
	v_fmac_f64_e32 v[8:9], s[2:3], v[76:77]
	v_add_f64 v[0:1], v[0:1], v[12:13]
	v_add_f64 v[12:13], v[10:11], v[28:29]
	;; [unrolled: 1-line block ×3, first 2 shown]
	v_mul_f64 v[8:9], v[82:83], s[18:19]
	v_fma_f64 v[28:29], v[76:77], s[20:21], -v[8:9]
	v_fmac_f64_e32 v[8:9], s[20:21], v[76:77]
	v_add_f64 v[8:9], v[8:9], v[14:15]
	v_mul_f64 v[14:15], v[82:83], s[28:29]
	v_add_f64 v[28:29], v[28:29], v[32:33]
	v_fma_f64 v[32:33], v[76:77], s[6:7], -v[14:15]
	v_fmac_f64_e32 v[14:15], s[6:7], v[76:77]
	v_add_f64 v[32:33], v[32:33], v[48:49]
	v_add_f64 v[48:49], v[14:15], v[34:35]
	v_mul_f64 v[14:15], v[82:83], s[12:13]
	v_fma_f64 v[34:35], v[76:77], s[14:15], -v[14:15]
	v_add_f64 v[24:25], v[34:35], v[24:25]
	v_mov_b32_e32 v35, 3
	v_mul_u32_u24_e32 v34, 0x790, v118
	v_lshlrev_b32_sdwa v35, v35, v119 dst_sel:DWORD dst_unused:UNUSED_PAD src0_sel:DWORD src1_sel:BYTE_0
	v_fmac_f64_e32 v[14:15], s[14:15], v[76:77]
	v_add3_u32 v74, 0, v34, v35
	v_add_u32_e32 v75, 0xf00, v81
	v_add_u32_e32 v76, 0x1e00, v81
	v_add_f64 v[14:15], v[14:15], v[54:55]
	ds_write2_b64 v74, v[30:31], v[26:27] offset1:22
	ds_write2_b64 v74, v[12:13], v[28:29] offset0:44 offset1:66
	ds_write2_b64 v74, v[32:33], v[24:25] offset0:88 offset1:110
	;; [unrolled: 1-line block ×4, first 2 shown]
	ds_write_b64 v74, v[0:1] offset:1760
	s_waitcnt lgkmcnt(0)
	s_barrier
	ds_read2_b64 v[24:27], v81 offset1:242
	ds_read2_b64 v[28:31], v75 offset0:4 offset1:246
	ds_read2_b64 v[32:35], v76 offset0:8 offset1:250
	ds_read_b64 v[54:55], v81 offset:11616
                                        ; implicit-def: $vgpr14_vgpr15
	s_and_saveexec_b64 s[36:37], s[0:1]
	s_cbranch_execz .LBB0_23
; %bb.22:
	v_add_u32_e32 v0, 0xc00, v81
	ds_read2_b64 v[8:11], v0 offset0:12 offset1:254
	v_add_u32_e32 v0, 0x1b80, v81
	v_add_u32_e32 v12, 0x2a80, v81
	ds_read_b64 v[48:49], v80
	ds_read2_b64 v[0:3], v0 offset1:242
	ds_read2_b64 v[12:15], v12 offset0:4 offset1:246
.LBB0_23:
	s_or_b64 exec, exec, s[36:37]
	v_add_f64 v[82:83], v[18:19], v[64:65]
	v_add_f64 v[82:83], v[82:83], v[56:57]
	;; [unrolled: 1-line block ×9, first 2 shown]
	v_add_f64 v[68:69], v[68:69], -v[72:73]
	v_add_f64 v[82:83], v[82:83], v[70:71]
	v_add_f64 v[64:65], v[64:65], v[70:71]
	v_mul_f64 v[70:71], v[68:69], s[10:11]
	v_mul_f64 v[84:85], v[68:69], s[16:17]
	;; [unrolled: 1-line block ×5, first 2 shown]
	v_add_f64 v[56:57], v[56:57], v[60:61]
	v_add_f64 v[60:61], v[62:63], -v[66:67]
	v_fma_f64 v[72:73], s[2:3], v[64:65], v[70:71]
	v_fma_f64 v[70:71], v[64:65], s[2:3], -v[70:71]
	v_fma_f64 v[86:87], s[6:7], v[64:65], v[84:85]
	v_fma_f64 v[84:85], v[64:65], s[6:7], -v[84:85]
	;; [unrolled: 2-line block ×5, first 2 shown]
	v_mul_f64 v[62:63], v[60:61], s[16:17]
	v_add_f64 v[72:73], v[18:19], v[72:73]
	v_add_f64 v[70:71], v[18:19], v[70:71]
	;; [unrolled: 1-line block ×10, first 2 shown]
	v_fma_f64 v[64:65], s[6:7], v[56:57], v[62:63]
	v_fma_f64 v[62:63], v[56:57], s[6:7], -v[62:63]
	v_mul_f64 v[66:67], v[60:61], s[18:19]
	v_add_f64 v[62:63], v[62:63], v[70:71]
	v_fma_f64 v[68:69], s[20:21], v[56:57], v[66:67]
	v_fma_f64 v[66:67], v[56:57], s[20:21], -v[66:67]
	v_mul_f64 v[70:71], v[60:61], s[34:35]
	v_add_f64 v[64:65], v[64:65], v[72:73]
	v_add_f64 v[66:67], v[66:67], v[84:85]
	v_fma_f64 v[72:73], s[24:25], v[56:57], v[70:71]
	v_fma_f64 v[70:71], v[56:57], s[24:25], -v[70:71]
	v_mul_f64 v[84:85], v[60:61], s[30:31]
	v_mul_f64 v[60:61], v[60:61], s[26:27]
	v_add_f64 v[44:45], v[44:45], v[46:47]
	v_add_f64 v[46:47], v[50:51], -v[58:59]
	v_add_f64 v[68:69], v[68:69], v[86:87]
	v_add_f64 v[70:71], v[70:71], v[88:89]
	v_fma_f64 v[86:87], s[14:15], v[56:57], v[84:85]
	v_fma_f64 v[84:85], v[56:57], s[14:15], -v[84:85]
	v_fma_f64 v[88:89], s[2:3], v[56:57], v[60:61]
	v_fma_f64 v[56:57], v[56:57], s[2:3], -v[60:61]
	v_mul_f64 v[50:51], v[46:47], s[12:13]
	v_add_f64 v[18:19], v[56:57], v[18:19]
	v_fma_f64 v[56:57], s[14:15], v[44:45], v[50:51]
	v_fma_f64 v[50:51], v[44:45], s[14:15], -v[50:51]
	v_mul_f64 v[58:59], v[46:47], s[34:35]
	v_add_f64 v[50:51], v[50:51], v[62:63]
	;; [unrolled: 4-line block ×3, first 2 shown]
	v_add_f64 v[58:59], v[58:59], v[66:67]
	v_fma_f64 v[64:65], s[6:7], v[44:45], v[62:63]
	v_fma_f64 v[62:63], v[44:45], s[6:7], -v[62:63]
	v_mul_f64 v[66:67], v[46:47], s[10:11]
	v_mul_f64 v[46:47], v[46:47], s[18:19]
	v_add_f64 v[36:37], v[36:37], v[38:39]
	v_add_f64 v[38:39], v[40:41], -v[42:43]
	v_add_f64 v[60:61], v[60:61], v[68:69]
	v_add_f64 v[62:63], v[62:63], v[70:71]
	v_fma_f64 v[68:69], s[2:3], v[44:45], v[66:67]
	v_fma_f64 v[66:67], v[44:45], s[2:3], -v[66:67]
	v_fma_f64 v[70:71], s[20:21], v[44:45], v[46:47]
	v_fma_f64 v[44:45], v[44:45], s[20:21], -v[46:47]
	v_mul_f64 v[40:41], v[38:39], s[18:19]
	v_add_f64 v[18:19], v[44:45], v[18:19]
	v_fma_f64 v[42:43], s[20:21], v[36:37], v[40:41]
	v_fma_f64 v[40:41], v[36:37], s[20:21], -v[40:41]
	v_mul_f64 v[44:45], v[38:39], s[30:31]
	v_add_f64 v[40:41], v[40:41], v[50:51]
	;; [unrolled: 4-line block ×3, first 2 shown]
	v_add_f64 v[44:45], v[44:45], v[58:59]
	v_fma_f64 v[56:57], s[2:3], v[36:37], v[50:51]
	v_fma_f64 v[50:51], v[36:37], s[2:3], -v[50:51]
	v_mul_f64 v[58:59], v[38:39], s[22:23]
	v_mul_f64 v[38:39], v[38:39], s[28:29]
	v_add_f64 v[20:21], v[20:21], -v[22:23]
	v_add_f64 v[46:47], v[46:47], v[60:61]
	v_add_f64 v[50:51], v[50:51], v[62:63]
	v_fma_f64 v[60:61], s[24:25], v[36:37], v[58:59]
	v_fma_f64 v[58:59], v[36:37], s[24:25], -v[58:59]
	v_fma_f64 v[62:63], s[6:7], v[36:37], v[38:39]
	v_fma_f64 v[36:37], v[36:37], s[6:7], -v[38:39]
	v_add_f64 v[38:39], v[4:5], v[16:17]
	v_mul_f64 v[4:5], v[20:21], s[22:23]
	v_fma_f64 v[16:17], s[24:25], v[38:39], v[4:5]
	v_add_f64 v[22:23], v[16:17], v[42:43]
	v_mul_f64 v[16:17], v[20:21], s[26:27]
	v_add_f64 v[84:85], v[84:85], v[92:93]
	v_add_f64 v[36:37], v[36:37], v[18:19]
	v_fma_f64 v[4:5], v[38:39], s[24:25], -v[4:5]
	v_fma_f64 v[18:19], s[2:3], v[38:39], v[16:17]
	v_fma_f64 v[16:17], v[38:39], s[2:3], -v[16:17]
	v_add_f64 v[72:73], v[72:73], v[90:91]
	v_add_f64 v[86:87], v[86:87], v[94:95]
	;; [unrolled: 1-line block ×7, first 2 shown]
	v_mul_f64 v[16:17], v[20:21], s[18:19]
	v_mul_f64 v[44:45], v[20:21], s[28:29]
	v_add_f64 v[64:65], v[64:65], v[72:73]
	v_add_f64 v[68:69], v[68:69], v[86:87]
	;; [unrolled: 1-line block ×4, first 2 shown]
	v_fma_f64 v[42:43], s[20:21], v[38:39], v[16:17]
	v_fma_f64 v[16:17], v[38:39], s[20:21], -v[16:17]
	v_fma_f64 v[46:47], s[6:7], v[38:39], v[44:45]
	v_fma_f64 v[44:45], v[38:39], s[6:7], -v[44:45]
	v_mul_f64 v[20:21], v[20:21], s[12:13]
	v_add_f64 v[56:57], v[56:57], v[64:65]
	v_add_f64 v[60:61], v[60:61], v[68:69]
	;; [unrolled: 1-line block ×5, first 2 shown]
	v_fma_f64 v[44:45], s[14:15], v[38:39], v[20:21]
	v_add_f64 v[42:43], v[42:43], v[56:57]
	v_add_f64 v[46:47], v[46:47], v[60:61]
	;; [unrolled: 1-line block ×3, first 2 shown]
	v_fma_f64 v[20:21], v[38:39], s[14:15], -v[20:21]
	v_add_f64 v[20:21], v[20:21], v[36:37]
	s_waitcnt lgkmcnt(0)
	s_barrier
	ds_write2_b64 v74, v[82:83], v[22:23] offset1:22
	ds_write2_b64 v74, v[40:41], v[42:43] offset0:44 offset1:66
	ds_write2_b64 v74, v[46:47], v[44:45] offset0:88 offset1:110
	;; [unrolled: 1-line block ×4, first 2 shown]
	ds_write_b64 v74, v[4:5] offset:1760
	s_waitcnt lgkmcnt(0)
	s_barrier
	ds_read2_b64 v[36:39], v81 offset1:242
	ds_read2_b64 v[40:43], v75 offset0:4 offset1:246
	ds_read2_b64 v[44:47], v76 offset0:8 offset1:250
	ds_read_b64 v[56:57], v81 offset:11616
                                        ; implicit-def: $vgpr22_vgpr23
	s_and_saveexec_b64 s[2:3], s[0:1]
	s_cbranch_execz .LBB0_25
; %bb.24:
	v_add_u32_e32 v4, 0xc00, v81
	ds_read2_b64 v[16:19], v4 offset0:12 offset1:254
	v_add_u32_e32 v4, 0x1b80, v81
	v_add_u32_e32 v20, 0x2a80, v81
	ds_read_b64 v[50:51], v80
	ds_read2_b64 v[4:7], v4 offset1:242
	ds_read2_b64 v[20:23], v20 offset0:4 offset1:246
.LBB0_25:
	s_or_b64 exec, exec, s[2:3]
	s_and_saveexec_b64 s[2:3], vcc
	s_cbranch_execz .LBB0_28
; %bb.26:
	v_mul_u32_u24_e32 v58, 6, v78
	v_lshlrev_b32_e32 v84, 4, v58
	global_load_dwordx4 v[58:61], v84, s[4:5] offset:3744
	global_load_dwordx4 v[62:65], v84, s[4:5] offset:3728
	;; [unrolled: 1-line block ×6, first 2 shown]
	s_mov_b32 s10, 0xe976ee23
	s_mov_b32 s16, 0x37e14327
	;; [unrolled: 1-line block ×20, first 2 shown]
	s_waitcnt vmcnt(5) lgkmcnt(1)
	v_mul_f64 v[84:85], v[44:45], v[60:61]
	s_waitcnt vmcnt(4)
	v_mul_f64 v[86:87], v[42:43], v[64:65]
	s_waitcnt vmcnt(3)
	;; [unrolled: 2-line block ×4, first 2 shown]
	v_mul_f64 v[92:93], v[38:39], v[76:77]
	s_waitcnt vmcnt(0) lgkmcnt(0)
	v_mul_f64 v[94:95], v[56:57], v[82:83]
	v_mul_f64 v[64:65], v[30:31], v[64:65]
	;; [unrolled: 1-line block ×7, first 2 shown]
	v_fma_f64 v[32:33], v[32:33], v[58:59], -v[84:85]
	v_fma_f64 v[30:31], v[30:31], v[62:63], -v[86:87]
	;; [unrolled: 1-line block ×6, first 2 shown]
	v_fmac_f64_e32 v[64:65], v[42:43], v[62:63]
	v_fmac_f64_e32 v[68:69], v[40:41], v[66:67]
	;; [unrolled: 1-line block ×4, first 2 shown]
	v_add_f64 v[38:39], v[32:33], -v[30:31]
	v_add_f64 v[42:43], v[26:27], -v[54:55]
	v_add_f64 v[30:31], v[32:33], v[30:31]
	v_add_f64 v[32:33], v[28:29], v[34:35]
	;; [unrolled: 1-line block ×3, first 2 shown]
	v_fmac_f64_e32 v[60:61], v[44:45], v[58:59]
	v_fmac_f64_e32 v[82:83], v[56:57], v[80:81]
	v_add_f64 v[46:47], v[68:69], v[72:73]
	v_add_f64 v[58:59], v[68:69], -v[72:73]
	v_add_f64 v[72:73], v[32:33], v[54:55]
	v_add_f64 v[40:41], v[28:29], -v[34:35]
	v_add_f64 v[44:45], v[60:61], v[64:65]
	v_add_f64 v[56:57], v[76:77], v[82:83]
	v_add_f64 v[26:27], v[60:61], -v[64:65]
	v_add_f64 v[68:69], v[30:31], -v[32:33]
	;; [unrolled: 1-line block ×3, first 2 shown]
	v_add_f64 v[30:31], v[30:31], v[72:73]
	v_add_f64 v[60:61], v[76:77], -v[82:83]
	v_add_f64 v[28:29], v[38:39], v[40:41]
	v_add_f64 v[34:35], v[38:39], -v[40:41]
	v_add_f64 v[64:65], v[56:57], -v[44:45]
	v_add_f64 v[66:67], v[46:47], v[56:57]
	v_add_f64 v[76:77], v[26:27], -v[58:59]
	v_add_f64 v[24:25], v[24:25], v[30:31]
	v_add_f64 v[82:83], v[28:29], v[42:43]
	v_mul_f64 v[84:85], v[34:35], s[10:11]
	v_mul_f64 v[34:35], v[64:65], s[16:17]
	v_add_f64 v[28:29], v[44:45], v[66:67]
	v_mul_f64 v[64:65], v[70:71], s[16:17]
	v_mul_f64 v[70:71], v[76:77], s[10:11]
	v_mov_b64_e32 v[76:77], v[24:25]
	v_add_f64 v[74:75], v[26:27], v[58:59]
	v_add_f64 v[80:81], v[60:61], -v[26:27]
	v_add_f64 v[26:27], v[36:37], v[28:29]
	v_fma_f64 v[36:37], s[12:13], v[68:69], v[64:65]
	v_fmac_f64_e32 v[76:77], s[14:15], v[30:31]
	v_add_f64 v[88:89], v[36:37], v[76:77]
	v_add_f64 v[36:37], v[40:41], -v[42:43]
	v_add_f64 v[38:39], v[42:43], -v[38:39]
	;; [unrolled: 1-line block ×3, first 2 shown]
	v_mul_f64 v[40:41], v[36:37], s[20:21]
	v_mul_f64 v[86:87], v[62:63], s[12:13]
	v_add_f64 v[66:67], v[74:75], v[60:61]
	v_fma_f64 v[72:73], s[6:7], v[38:39], v[84:85]
	v_mov_b64_e32 v[74:75], v[26:27]
	v_fma_f64 v[90:91], v[38:39], s[18:19], -v[40:41]
	v_add_f64 v[38:39], v[46:47], -v[56:57]
	v_fma_f64 v[62:63], s[12:13], v[62:63], v[34:35]
	v_fmac_f64_e32 v[74:75], s[14:15], v[28:29]
	v_fma_f64 v[34:35], v[38:39], s[22:23], -v[34:35]
	v_add_f64 v[40:41], v[32:33], -v[54:55]
	v_add_f64 v[42:43], v[58:59], -v[60:61]
	v_fma_f64 v[38:39], v[38:39], s[24:25], -v[86:87]
	v_fma_f64 v[60:61], v[36:37], s[20:21], -v[84:85]
	;; [unrolled: 1-line block ×3, first 2 shown]
	v_add_f64 v[58:59], v[38:39], v[74:75]
	v_fmac_f64_e32 v[60:61], s[2:3], v[82:83]
	v_add_f64 v[54:55], v[32:33], v[76:77]
	v_mul_f64 v[32:33], v[42:43], s[20:21]
	v_add_f64 v[38:39], v[58:59], -v[60:61]
	v_fma_f64 v[64:65], v[42:43], s[20:21], -v[70:71]
	v_add_f64 v[42:43], v[60:61], v[58:59]
	v_mad_u64_u32 v[58:59], s[26:27], s8, v78, 0
	v_mov_b32_e32 v60, v59
	v_mad_u64_u32 v[60:61], s[26:27], s9, v78, v[60:61]
	v_mov_b32_e32 v59, v60
	v_lshl_add_u64 v[58:59], v[58:59], 4, v[52:53]
	global_store_dwordx4 v[58:59], v[24:27], off
	v_mul_f64 v[44:45], v[68:69], s[12:13]
	v_fma_f64 v[68:69], s[6:7], v[80:81], v[70:71]
	v_add_u32_e32 v27, 0xf2, v78
	v_mad_u64_u32 v[24:25], s[26:27], s8, v27, 0
	v_mov_b32_e32 v26, v25
	v_fma_f64 v[56:57], v[80:81], s[18:19], -v[32:33]
	v_mad_u64_u32 v[26:27], s[26:27], s9, v27, v[26:27]
	v_fmac_f64_e32 v[72:73], s[2:3], v[82:83]
	v_add_f64 v[62:63], v[62:63], v[74:75]
	v_fmac_f64_e32 v[68:69], s[2:3], v[66:67]
	v_fmac_f64_e32 v[56:57], s[2:3], v[66:67]
	v_mov_b32_e32 v25, v26
	v_add_f64 v[32:33], v[54:55], -v[56:57]
	v_fma_f64 v[36:37], v[40:41], s[24:25], -v[44:45]
	v_add_f64 v[44:45], v[56:57], v[54:55]
	v_add_f64 v[56:57], v[62:63], -v[72:73]
	v_add_f64 v[54:55], v[68:69], v[88:89]
	v_lshl_add_u64 v[24:25], v[24:25], 4, v[52:53]
	v_add_u32_e32 v27, 0x1e4, v78
	global_store_dwordx4 v[24:25], v[54:57], off
	v_mad_u64_u32 v[24:25], s[26:27], s8, v27, 0
	v_mov_b32_e32 v26, v25
	v_mad_u64_u32 v[26:27], s[26:27], s9, v27, v[26:27]
	v_fmac_f64_e32 v[90:91], s[2:3], v[82:83]
	v_add_f64 v[46:47], v[34:35], v[74:75]
	v_mov_b32_e32 v25, v26
	v_add_f64 v[34:35], v[90:91], v[46:47]
	v_add_f64 v[46:47], v[46:47], -v[90:91]
	v_lshl_add_u64 v[24:25], v[24:25], 4, v[52:53]
	v_add_u32_e32 v27, 0x2d6, v78
	global_store_dwordx4 v[24:25], v[44:47], off
	v_mad_u64_u32 v[24:25], s[26:27], s8, v27, 0
	v_mov_b32_e32 v26, v25
	v_mad_u64_u32 v[26:27], s[26:27], s9, v27, v[26:27]
	v_fmac_f64_e32 v[64:65], s[2:3], v[66:67]
	v_add_f64 v[40:41], v[36:37], v[76:77]
	v_mov_b32_e32 v25, v26
	v_add_f64 v[36:37], v[64:65], v[40:41]
	v_add_f64 v[40:41], v[40:41], -v[64:65]
	v_lshl_add_u64 v[24:25], v[24:25], 4, v[52:53]
	v_add_u32_e32 v27, 0x3c8, v78
	global_store_dwordx4 v[24:25], v[40:43], off
	v_mad_u64_u32 v[24:25], s[26:27], s8, v27, 0
	v_mov_b32_e32 v26, v25
	v_mad_u64_u32 v[26:27], s[26:27], s9, v27, v[26:27]
	v_mov_b32_e32 v25, v26
	v_lshl_add_u64 v[24:25], v[24:25], 4, v[52:53]
	v_add_u32_e32 v27, 0x4ba, v78
	global_store_dwordx4 v[24:25], v[36:39], off
	v_mad_u64_u32 v[24:25], s[26:27], s8, v27, 0
	v_mov_b32_e32 v26, v25
	v_mad_u64_u32 v[26:27], s[26:27], s9, v27, v[26:27]
	v_mov_b32_e32 v25, v26
	;; [unrolled: 7-line block ×3, first 2 shown]
	v_add_f64 v[30:31], v[72:73], v[62:63]
	v_add_f64 v[28:29], v[88:89], -v[68:69]
	v_lshl_add_u64 v[24:25], v[24:25], 4, v[52:53]
	global_store_dwordx4 v[24:25], v[28:31], off
	s_and_b64 exec, exec, s[0:1]
	s_cbranch_execz .LBB0_28
; %bb.27:
	v_add_u32_e32 v24, 0xffffffa8, v78
	v_cndmask_b32_e64 v24, v24, v79, s[0:1]
	v_mul_i32_i24_e32 v24, 6, v24
	v_mov_b32_e32 v25, 0
	v_lshl_add_u64 v[54:55], v[24:25], 4, s[4:5]
	global_load_dwordx4 v[24:27], v[54:55], off offset:3696
	global_load_dwordx4 v[28:31], v[54:55], off offset:3712
	;; [unrolled: 1-line block ×6, first 2 shown]
	s_waitcnt vmcnt(5)
	v_mul_f64 v[54:55], v[16:17], v[26:27]
	v_mul_f64 v[26:27], v[8:9], v[26:27]
	s_waitcnt vmcnt(4)
	v_mul_f64 v[56:57], v[18:19], v[30:31]
	v_mul_f64 v[30:31], v[10:11], v[30:31]
	;; [unrolled: 3-line block ×4, first 2 shown]
	v_mul_f64 v[58:59], v[4:5], v[34:35]
	v_mul_f64 v[34:35], v[0:1], v[34:35]
	;; [unrolled: 1-line block ×4, first 2 shown]
	v_fmac_f64_e32 v[26:27], v[16:17], v[24:25]
	v_fmac_f64_e32 v[30:31], v[18:19], v[28:29]
	;; [unrolled: 1-line block ×4, first 2 shown]
	v_fma_f64 v[8:9], v[8:9], v[24:25], -v[54:55]
	v_fma_f64 v[10:11], v[10:11], v[28:29], -v[56:57]
	;; [unrolled: 1-line block ×3, first 2 shown]
	v_fmac_f64_e32 v[34:35], v[4:5], v[32:33]
	v_fma_f64 v[2:3], v[2:3], v[36:37], -v[60:61]
	v_fmac_f64_e32 v[38:39], v[6:7], v[36:37]
	v_fma_f64 v[4:5], v[12:13], v[40:41], -v[62:63]
	v_fma_f64 v[6:7], v[14:15], v[44:45], -v[64:65]
	v_add_f64 v[14:15], v[26:27], v[46:47]
	v_add_f64 v[18:19], v[30:31], v[42:43]
	;; [unrolled: 1-line block ×3, first 2 shown]
	v_add_f64 v[6:7], v[8:9], -v[6:7]
	v_add_f64 v[8:9], v[26:27], -v[46:47]
	v_add_f64 v[16:17], v[10:11], v[4:5]
	v_add_f64 v[4:5], v[10:11], -v[4:5]
	v_add_f64 v[10:11], v[30:31], -v[42:43]
	v_add_f64 v[20:21], v[0:1], v[2:3]
	v_add_f64 v[22:23], v[34:35], v[38:39]
	v_add_f64 v[0:1], v[2:3], -v[0:1]
	v_add_f64 v[2:3], v[38:39], -v[34:35]
	v_add_f64 v[26:27], v[18:19], v[14:15]
	v_add_f64 v[24:25], v[16:17], v[12:13]
	v_add_f64 v[28:29], v[16:17], -v[12:13]
	v_add_f64 v[30:31], v[18:19], -v[14:15]
	v_add_f64 v[12:13], v[12:13], -v[20:21]
	v_add_f64 v[14:15], v[14:15], -v[22:23]
	v_add_f64 v[16:17], v[20:21], -v[16:17]
	v_add_f64 v[18:19], v[22:23], -v[18:19]
	v_add_f64 v[32:33], v[0:1], v[4:5]
	v_add_f64 v[34:35], v[2:3], v[10:11]
	v_add_f64 v[36:37], v[0:1], -v[4:5]
	v_add_f64 v[38:39], v[2:3], -v[10:11]
	v_add_f64 v[22:23], v[22:23], v[26:27]
	v_add_f64 v[40:41], v[6:7], -v[0:1]
	v_add_f64 v[42:43], v[8:9], -v[2:3]
	;; [unrolled: 1-line block ×4, first 2 shown]
	v_add_f64 v[20:21], v[20:21], v[24:25]
	v_add_f64 v[6:7], v[32:33], v[6:7]
	;; [unrolled: 1-line block ×3, first 2 shown]
	v_mul_f64 v[12:13], v[12:13], s[16:17]
	v_mul_f64 v[14:15], v[14:15], s[16:17]
	;; [unrolled: 1-line block ×6, first 2 shown]
	v_add_f64 v[2:3], v[50:51], v[22:23]
	v_mul_f64 v[36:37], v[4:5], s[20:21]
	v_mul_f64 v[38:39], v[10:11], s[20:21]
	v_fma_f64 v[16:17], s[12:13], v[16:17], v[12:13]
	v_fma_f64 v[24:25], v[28:29], s[24:25], -v[24:25]
	v_fma_f64 v[26:27], v[30:31], s[24:25], -v[26:27]
	;; [unrolled: 1-line block ×4, first 2 shown]
	v_fmac_f64_e32 v[14:15], s[12:13], v[18:19]
	v_fma_f64 v[30:31], s[6:7], v[40:41], v[32:33]
	v_fma_f64 v[18:19], v[4:5], s[20:21], -v[32:33]
	v_fma_f64 v[32:33], v[10:11], s[20:21], -v[34:35]
	v_mov_b64_e32 v[10:11], v[2:3]
	v_fma_f64 v[36:37], v[40:41], s[18:19], -v[36:37]
	v_fmac_f64_e32 v[10:11], s[14:15], v[22:23]
	v_add_f64 v[40:41], v[14:15], v[10:11]
	v_add_f64 v[22:23], v[26:27], v[10:11]
	v_add_f64 v[26:27], v[28:29], v[10:11]
	v_fmac_f64_e32 v[30:31], s[2:3], v[6:7]
	v_fmac_f64_e32 v[18:19], s[2:3], v[6:7]
	;; [unrolled: 1-line block ×3, first 2 shown]
	v_add_f64 v[6:7], v[40:41], -v[30:31]
	v_add_f64 v[10:11], v[26:27], -v[36:37]
	v_add_f64 v[14:15], v[18:19], v[22:23]
	v_add_f64 v[18:19], v[22:23], -v[18:19]
	v_add_f64 v[22:23], v[36:37], v[26:27]
	v_add_f64 v[26:27], v[30:31], v[40:41]
	v_add_u32_e32 v31, 0x9a, v78
	v_mad_u64_u32 v[28:29], s[0:1], s8, v31, 0
	v_mov_b32_e32 v30, v29
	v_mad_u64_u32 v[30:31], s[0:1], s9, v31, v[30:31]
	v_mov_b32_e32 v29, v30
	v_add_f64 v[0:1], v[48:49], v[20:21]
	v_lshl_add_u64 v[28:29], v[28:29], 4, v[52:53]
	global_store_dwordx4 v[28:29], v[0:3], off
	v_mov_b64_e32 v[4:5], v[0:1]
	v_fmac_f64_e32 v[34:35], s[6:7], v[42:43]
	v_add_u32_e32 v3, 0x18c, v78
	v_mad_u64_u32 v[0:1], s[0:1], s8, v3, 0
	v_mov_b32_e32 v2, v1
	v_fmac_f64_e32 v[4:5], s[14:15], v[20:21]
	v_mad_u64_u32 v[2:3], s[0:1], s9, v3, v[2:3]
	v_fma_f64 v[20:21], v[42:43], s[18:19], -v[38:39]
	v_add_f64 v[38:39], v[16:17], v[4:5]
	v_fmac_f64_e32 v[34:35], s[2:3], v[8:9]
	v_mov_b32_e32 v1, v2
	v_add_f64 v[16:17], v[24:25], v[4:5]
	v_add_f64 v[24:25], v[12:13], v[4:5]
	;; [unrolled: 1-line block ×3, first 2 shown]
	v_lshl_add_u64 v[0:1], v[0:1], 4, v[52:53]
	v_add_u32_e32 v3, 0x27e, v78
	global_store_dwordx4 v[0:1], v[4:7], off
	v_mad_u64_u32 v[0:1], s[0:1], s8, v3, 0
	v_mov_b32_e32 v2, v1
	v_mad_u64_u32 v[2:3], s[0:1], s9, v3, v[2:3]
	v_fmac_f64_e32 v[20:21], s[2:3], v[8:9]
	v_mov_b32_e32 v1, v2
	v_fmac_f64_e32 v[32:33], s[2:3], v[8:9]
	v_add_f64 v[8:9], v[20:21], v[24:25]
	v_lshl_add_u64 v[0:1], v[0:1], 4, v[52:53]
	v_add_u32_e32 v3, 0x370, v78
	global_store_dwordx4 v[0:1], v[8:11], off
	v_mad_u64_u32 v[0:1], s[0:1], s8, v3, 0
	v_mov_b32_e32 v2, v1
	v_mad_u64_u32 v[2:3], s[0:1], s9, v3, v[2:3]
	v_mov_b32_e32 v1, v2
	v_add_f64 v[12:13], v[16:17], -v[32:33]
	v_lshl_add_u64 v[0:1], v[0:1], 4, v[52:53]
	v_add_u32_e32 v3, 0x462, v78
	global_store_dwordx4 v[0:1], v[12:15], off
	v_mad_u64_u32 v[0:1], s[0:1], s8, v3, 0
	v_mov_b32_e32 v2, v1
	v_mad_u64_u32 v[2:3], s[0:1], s9, v3, v[2:3]
	v_mov_b32_e32 v1, v2
	v_add_f64 v[16:17], v[32:33], v[16:17]
	v_lshl_add_u64 v[0:1], v[0:1], 4, v[52:53]
	v_add_u32_e32 v3, 0x554, v78
	global_store_dwordx4 v[0:1], v[16:19], off
	v_mad_u64_u32 v[0:1], s[0:1], s8, v3, 0
	v_mov_b32_e32 v2, v1
	v_mad_u64_u32 v[2:3], s[0:1], s9, v3, v[2:3]
	v_mov_b32_e32 v1, v2
	v_add_f64 v[20:21], v[24:25], -v[20:21]
	v_lshl_add_u64 v[0:1], v[0:1], 4, v[52:53]
	v_add_u32_e32 v3, 0x646, v78
	global_store_dwordx4 v[0:1], v[20:23], off
	v_mad_u64_u32 v[0:1], s[0:1], s8, v3, 0
	v_mov_b32_e32 v2, v1
	v_mad_u64_u32 v[2:3], s[0:1], s9, v3, v[2:3]
	v_mov_b32_e32 v1, v2
	v_add_f64 v[24:25], v[38:39], -v[34:35]
	v_lshl_add_u64 v[0:1], v[0:1], 4, v[52:53]
	global_store_dwordx4 v[0:1], v[24:27], off
.LBB0_28:
	s_endpgm
	.section	.rodata,"a",@progbits
	.p2align	6, 0x0
	.amdhsa_kernel fft_rtc_fwd_len1694_factors_11_2_11_7_wgs_154_tpt_154_halfLds_dp_ip_CI_sbrr_dirReg
		.amdhsa_group_segment_fixed_size 0
		.amdhsa_private_segment_fixed_size 0
		.amdhsa_kernarg_size 88
		.amdhsa_user_sgpr_count 2
		.amdhsa_user_sgpr_dispatch_ptr 0
		.amdhsa_user_sgpr_queue_ptr 0
		.amdhsa_user_sgpr_kernarg_segment_ptr 1
		.amdhsa_user_sgpr_dispatch_id 0
		.amdhsa_user_sgpr_kernarg_preload_length 0
		.amdhsa_user_sgpr_kernarg_preload_offset 0
		.amdhsa_user_sgpr_private_segment_size 0
		.amdhsa_uses_dynamic_stack 0
		.amdhsa_enable_private_segment 0
		.amdhsa_system_sgpr_workgroup_id_x 1
		.amdhsa_system_sgpr_workgroup_id_y 0
		.amdhsa_system_sgpr_workgroup_id_z 0
		.amdhsa_system_sgpr_workgroup_info 0
		.amdhsa_system_vgpr_workitem_id 0
		.amdhsa_next_free_vgpr 120
		.amdhsa_next_free_sgpr 38
		.amdhsa_accum_offset 120
		.amdhsa_reserve_vcc 1
		.amdhsa_float_round_mode_32 0
		.amdhsa_float_round_mode_16_64 0
		.amdhsa_float_denorm_mode_32 3
		.amdhsa_float_denorm_mode_16_64 3
		.amdhsa_dx10_clamp 1
		.amdhsa_ieee_mode 1
		.amdhsa_fp16_overflow 0
		.amdhsa_tg_split 0
		.amdhsa_exception_fp_ieee_invalid_op 0
		.amdhsa_exception_fp_denorm_src 0
		.amdhsa_exception_fp_ieee_div_zero 0
		.amdhsa_exception_fp_ieee_overflow 0
		.amdhsa_exception_fp_ieee_underflow 0
		.amdhsa_exception_fp_ieee_inexact 0
		.amdhsa_exception_int_div_zero 0
	.end_amdhsa_kernel
	.text
.Lfunc_end0:
	.size	fft_rtc_fwd_len1694_factors_11_2_11_7_wgs_154_tpt_154_halfLds_dp_ip_CI_sbrr_dirReg, .Lfunc_end0-fft_rtc_fwd_len1694_factors_11_2_11_7_wgs_154_tpt_154_halfLds_dp_ip_CI_sbrr_dirReg
                                        ; -- End function
	.section	.AMDGPU.csdata,"",@progbits
; Kernel info:
; codeLenInByte = 11540
; NumSgprs: 44
; NumVgprs: 120
; NumAgprs: 0
; TotalNumVgprs: 120
; ScratchSize: 0
; MemoryBound: 1
; FloatMode: 240
; IeeeMode: 1
; LDSByteSize: 0 bytes/workgroup (compile time only)
; SGPRBlocks: 5
; VGPRBlocks: 14
; NumSGPRsForWavesPerEU: 44
; NumVGPRsForWavesPerEU: 120
; AccumOffset: 120
; Occupancy: 4
; WaveLimiterHint : 1
; COMPUTE_PGM_RSRC2:SCRATCH_EN: 0
; COMPUTE_PGM_RSRC2:USER_SGPR: 2
; COMPUTE_PGM_RSRC2:TRAP_HANDLER: 0
; COMPUTE_PGM_RSRC2:TGID_X_EN: 1
; COMPUTE_PGM_RSRC2:TGID_Y_EN: 0
; COMPUTE_PGM_RSRC2:TGID_Z_EN: 0
; COMPUTE_PGM_RSRC2:TIDIG_COMP_CNT: 0
; COMPUTE_PGM_RSRC3_GFX90A:ACCUM_OFFSET: 29
; COMPUTE_PGM_RSRC3_GFX90A:TG_SPLIT: 0
	.text
	.p2alignl 6, 3212836864
	.fill 256, 4, 3212836864
	.type	__hip_cuid_bdda6a05686bd9d9,@object ; @__hip_cuid_bdda6a05686bd9d9
	.section	.bss,"aw",@nobits
	.globl	__hip_cuid_bdda6a05686bd9d9
__hip_cuid_bdda6a05686bd9d9:
	.byte	0                               ; 0x0
	.size	__hip_cuid_bdda6a05686bd9d9, 1

	.ident	"AMD clang version 19.0.0git (https://github.com/RadeonOpenCompute/llvm-project roc-6.4.0 25133 c7fe45cf4b819c5991fe208aaa96edf142730f1d)"
	.section	".note.GNU-stack","",@progbits
	.addrsig
	.addrsig_sym __hip_cuid_bdda6a05686bd9d9
	.amdgpu_metadata
---
amdhsa.kernels:
  - .agpr_count:     0
    .args:
      - .actual_access:  read_only
        .address_space:  global
        .offset:         0
        .size:           8
        .value_kind:     global_buffer
      - .offset:         8
        .size:           8
        .value_kind:     by_value
      - .actual_access:  read_only
        .address_space:  global
        .offset:         16
        .size:           8
        .value_kind:     global_buffer
      - .actual_access:  read_only
        .address_space:  global
        .offset:         24
        .size:           8
        .value_kind:     global_buffer
      - .offset:         32
        .size:           8
        .value_kind:     by_value
      - .actual_access:  read_only
        .address_space:  global
        .offset:         40
        .size:           8
        .value_kind:     global_buffer
      - .actual_access:  read_only
        .address_space:  global
        .offset:         48
        .size:           8
        .value_kind:     global_buffer
      - .offset:         56
        .size:           4
        .value_kind:     by_value
      - .actual_access:  read_only
        .address_space:  global
        .offset:         64
        .size:           8
        .value_kind:     global_buffer
      - .actual_access:  read_only
        .address_space:  global
        .offset:         72
        .size:           8
        .value_kind:     global_buffer
      - .address_space:  global
        .offset:         80
        .size:           8
        .value_kind:     global_buffer
    .group_segment_fixed_size: 0
    .kernarg_segment_align: 8
    .kernarg_segment_size: 88
    .language:       OpenCL C
    .language_version:
      - 2
      - 0
    .max_flat_workgroup_size: 154
    .name:           fft_rtc_fwd_len1694_factors_11_2_11_7_wgs_154_tpt_154_halfLds_dp_ip_CI_sbrr_dirReg
    .private_segment_fixed_size: 0
    .sgpr_count:     44
    .sgpr_spill_count: 0
    .symbol:         fft_rtc_fwd_len1694_factors_11_2_11_7_wgs_154_tpt_154_halfLds_dp_ip_CI_sbrr_dirReg.kd
    .uniform_work_group_size: 1
    .uses_dynamic_stack: false
    .vgpr_count:     120
    .vgpr_spill_count: 0
    .wavefront_size: 64
amdhsa.target:   amdgcn-amd-amdhsa--gfx950
amdhsa.version:
  - 1
  - 2
...

	.end_amdgpu_metadata
